;; amdgpu-corpus repo=ROCm/rocFFT kind=compiled arch=gfx906 opt=O3
	.text
	.amdgcn_target "amdgcn-amd-amdhsa--gfx906"
	.amdhsa_code_object_version 6
	.protected	bluestein_single_back_len1365_dim1_dp_op_CI_CI ; -- Begin function bluestein_single_back_len1365_dim1_dp_op_CI_CI
	.globl	bluestein_single_back_len1365_dim1_dp_op_CI_CI
	.p2align	8
	.type	bluestein_single_back_len1365_dim1_dp_op_CI_CI,@function
bluestein_single_back_len1365_dim1_dp_op_CI_CI: ; @bluestein_single_back_len1365_dim1_dp_op_CI_CI
; %bb.0:
	s_load_dwordx4 s[8:11], s[4:5], 0x28
	v_mul_u32_u24_e32 v1, 0x2d1, v0
	s_mov_b64 s[54:55], s[2:3]
	v_lshrrev_b32_e32 v10, 16, v1
	s_mov_b64 s[52:53], s[0:1]
	v_lshl_add_u32 v4, s6, 1, v10
	v_mov_b32_e32 v5, 0
	s_add_u32 s52, s52, s7
	s_waitcnt lgkmcnt(0)
	v_cmp_gt_u64_e32 vcc, s[8:9], v[4:5]
	s_addc_u32 s53, s53, 0
	s_and_saveexec_b64 s[0:1], vcc
	s_cbranch_execz .LBB0_23
; %bb.1:
	s_load_dwordx4 s[12:15], s[4:5], 0x18
	s_load_dwordx2 s[16:17], s[4:5], 0x0
	v_mul_lo_u16_e32 v1, 0x5b, v10
	v_sub_u16_e32 v185, v0, v1
	v_mov_b32_e32 v5, v4
	s_waitcnt lgkmcnt(0)
	s_load_dwordx4 s[0:3], s[12:13], 0x0
	buffer_store_dword v5, off, s[52:55], 0 ; 4-byte Folded Spill
	s_nop 0
	buffer_store_dword v6, off, s[52:55], 0 offset:4 ; 4-byte Folded Spill
	v_lshlrev_b32_e32 v79, 4, v185
	v_and_b32_e32 v80, 1, v10
	v_mov_b32_e32 v81, 0x555
	s_waitcnt lgkmcnt(0)
	v_mad_u64_u32 v[0:1], s[6:7], s2, v4, 0
	v_mad_u64_u32 v[2:3], s[6:7], s0, v185, 0
	s_mul_i32 s6, s1, 0x69
	s_mul_hi_u32 s7, s0, 0x69
	v_mad_u64_u32 v[4:5], s[2:3], s3, v4, v[1:2]
	s_add_i32 s7, s7, s6
	s_mul_i32 s6, s0, 0x69
	v_mad_u64_u32 v[5:6], s[2:3], s1, v185, v[3:4]
	v_mov_b32_e32 v1, v4
	v_lshlrev_b64 v[0:1], 4, v[0:1]
	v_mov_b32_e32 v3, v5
	v_mov_b32_e32 v6, s11
	v_lshlrev_b64 v[2:3], 4, v[2:3]
	v_add_co_u32_e32 v0, vcc, s10, v0
	v_addc_co_u32_e32 v1, vcc, v6, v1, vcc
	v_add_co_u32_e32 v0, vcc, v0, v2
	v_mov_b32_e32 v2, s17
	v_add_co_u32_e64 v96, s[2:3], s16, v79
	v_addc_co_u32_e32 v1, vcc, v1, v3, vcc
	v_addc_co_u32_e64 v97, vcc, 0, v2, s[2:3]
	s_lshl_b64 s[12:13], s[6:7], 4
	v_mov_b32_e32 v59, s13
	v_add_co_u32_e32 v2, vcc, s12, v0
	v_addc_co_u32_e32 v3, vcc, v1, v59, vcc
	global_load_dwordx4 v[11:14], v[0:1], off
	global_load_dwordx4 v[15:18], v[2:3], off
	global_load_dwordx4 v[67:70], v79, s[16:17]
	global_load_dwordx4 v[118:121], v79, s[16:17] offset:1680
	v_add_co_u32_e32 v0, vcc, s12, v2
	v_addc_co_u32_e32 v1, vcc, v3, v59, vcc
	v_add_co_u32_e32 v2, vcc, s12, v0
	v_addc_co_u32_e32 v3, vcc, v1, v59, vcc
	s_movk_i32 s6, 0x1000
	global_load_dwordx4 v[86:89], v79, s[16:17] offset:3360
	global_load_dwordx4 v[19:22], v[0:1], off
	global_load_dwordx4 v[23:26], v[2:3], off
	v_add_co_u32_e32 v0, vcc, s6, v96
	v_addc_co_u32_e32 v1, vcc, 0, v97, vcc
	v_add_co_u32_e32 v2, vcc, s12, v2
	v_addc_co_u32_e32 v3, vcc, v3, v59, vcc
	;; [unrolled: 2-line block ×3, first 2 shown]
	s_movk_i32 s6, 0x2000
	global_load_dwordx4 v[27:30], v[2:3], off
	global_load_dwordx4 v[126:129], v[0:1], off offset:944
	global_load_dwordx4 v[102:105], v[0:1], off offset:2624
	v_add_co_u32_e32 v2, vcc, s6, v96
	v_addc_co_u32_e32 v3, vcc, 0, v97, vcc
	global_load_dwordx4 v[31:34], v[4:5], off
	v_add_co_u32_e32 v4, vcc, s12, v4
	v_addc_co_u32_e32 v5, vcc, v5, v59, vcc
	global_load_dwordx4 v[35:38], v[4:5], off
	global_load_dwordx4 v[130:133], v[2:3], off offset:208
	global_load_dwordx4 v[106:109], v[2:3], off offset:1888
	v_add_co_u32_e32 v4, vcc, s12, v4
	v_addc_co_u32_e32 v5, vcc, v5, v59, vcc
	v_add_co_u32_e32 v6, vcc, s12, v4
	v_addc_co_u32_e32 v7, vcc, v5, v59, vcc
	s_movk_i32 s6, 0x3000
	global_load_dwordx4 v[39:42], v[4:5], off
	global_load_dwordx4 v[90:93], v[2:3], off offset:3568
	v_add_co_u32_e32 v4, vcc, s6, v96
	v_addc_co_u32_e32 v5, vcc, 0, v97, vcc
	global_load_dwordx4 v[43:46], v[6:7], off
	v_add_co_u32_e32 v6, vcc, s12, v6
	v_addc_co_u32_e32 v7, vcc, v7, v59, vcc
	v_add_co_u32_e32 v8, vcc, s12, v6
	v_addc_co_u32_e32 v9, vcc, v7, v59, vcc
	s_movk_i32 s6, 0x4000
	global_load_dwordx4 v[47:50], v[6:7], off
	global_load_dwordx4 v[122:125], v[4:5], off offset:1152
	global_load_dwordx4 v[98:101], v[4:5], off offset:2832
	v_add_co_u32_e32 v6, vcc, s6, v96
	v_addc_co_u32_e32 v7, vcc, 0, v97, vcc
	global_load_dwordx4 v[51:54], v[8:9], off
	v_add_co_u32_e32 v8, vcc, s12, v8
	v_addc_co_u32_e32 v9, vcc, v9, v59, vcc
	global_load_dwordx4 v[55:58], v[8:9], off
	global_load_dwordx4 v[110:113], v[6:7], off offset:416
	global_load_dwordx4 v[82:85], v[6:7], off offset:2096
	v_add_co_u32_e32 v8, vcc, s12, v8
	v_addc_co_u32_e32 v9, vcc, v9, v59, vcc
	global_load_dwordx4 v[59:62], v[8:9], off
	global_load_dwordx4 v[114:117], v[6:7], off offset:3776
	s_load_dwordx2 s[6:7], s[4:5], 0x38
	s_load_dwordx4 s[8:11], s[14:15], 0x0
	v_cmp_eq_u32_e32 vcc, 1, v80
	s_waitcnt vmcnt(23)
	v_mul_f64 v[63:64], v[13:14], v[69:70]
	v_mul_f64 v[65:66], v[11:12], v[69:70]
	v_fma_f64 v[10:11], v[11:12], v[67:68], v[63:64]
	buffer_store_dword v67, off, s[52:55], 0 offset:204 ; 4-byte Folded Spill
	s_nop 0
	buffer_store_dword v68, off, s[52:55], 0 offset:208 ; 4-byte Folded Spill
	buffer_store_dword v69, off, s[52:55], 0 offset:212 ; 4-byte Folded Spill
	;; [unrolled: 1-line block ×3, first 2 shown]
	s_waitcnt vmcnt(26)
	v_mul_f64 v[63:64], v[17:18], v[120:121]
	s_waitcnt vmcnt(24)
	v_mul_f64 v[69:70], v[19:20], v[88:89]
	s_waitcnt vmcnt(21)
	v_mul_f64 v[71:72], v[25:26], v[128:129]
	v_mul_f64 v[73:74], v[23:24], v[128:129]
	s_waitcnt vmcnt(20)
	v_mul_f64 v[75:76], v[29:30], v[104:105]
	v_mul_f64 v[77:78], v[27:28], v[104:105]
	v_fma_f64 v[12:13], v[13:14], v[67:68], -v[65:66]
	v_mul_f64 v[65:66], v[15:16], v[120:121]
	v_fma_f64 v[14:15], v[15:16], v[118:119], v[63:64]
	buffer_store_dword v118, off, s[52:55], 0 offset:140 ; 4-byte Folded Spill
	s_nop 0
	buffer_store_dword v119, off, s[52:55], 0 offset:144 ; 4-byte Folded Spill
	buffer_store_dword v120, off, s[52:55], 0 offset:148 ; 4-byte Folded Spill
	;; [unrolled: 1-line block ×3, first 2 shown]
	v_mul_f64 v[67:68], v[21:22], v[88:89]
	v_fma_f64 v[16:17], v[17:18], v[118:119], -v[65:66]
	v_fma_f64 v[18:19], v[19:20], v[86:87], v[67:68]
	buffer_store_dword v86, off, s[52:55], 0 offset:28 ; 4-byte Folded Spill
	s_nop 0
	buffer_store_dword v87, off, s[52:55], 0 offset:32 ; 4-byte Folded Spill
	buffer_store_dword v88, off, s[52:55], 0 offset:36 ; 4-byte Folded Spill
	buffer_store_dword v89, off, s[52:55], 0 offset:40 ; 4-byte Folded Spill
	v_fma_f64 v[20:21], v[21:22], v[86:87], -v[69:70]
	v_fma_f64 v[22:23], v[23:24], v[126:127], v[71:72]
	buffer_store_dword v126, off, s[52:55], 0 offset:172 ; 4-byte Folded Spill
	s_nop 0
	buffer_store_dword v127, off, s[52:55], 0 offset:176 ; 4-byte Folded Spill
	buffer_store_dword v128, off, s[52:55], 0 offset:180 ; 4-byte Folded Spill
	buffer_store_dword v129, off, s[52:55], 0 offset:184 ; 4-byte Folded Spill
	;; [unrolled: 7-line block ×3, first 2 shown]
	v_fma_f64 v[28:29], v[29:30], v[102:103], -v[77:78]
	v_cndmask_b32_e32 v30, 0, v81, vcc
	v_lshlrev_b32_e32 v186, 4, v30
	v_add_u32_e32 v178, v186, v79
	ds_write_b128 v178, v[10:13]
	ds_write_b128 v178, v[14:17] offset:1680
	ds_write_b128 v178, v[18:21] offset:3360
	;; [unrolled: 1-line block ×4, first 2 shown]
	s_waitcnt vmcnt(33)
	v_mul_f64 v[10:11], v[33:34], v[132:133]
	s_waitcnt vmcnt(32)
	v_mul_f64 v[14:15], v[37:38], v[108:109]
	v_mul_f64 v[12:13], v[31:32], v[132:133]
	v_mul_f64 v[16:17], v[35:36], v[108:109]
	s_waitcnt vmcnt(30)
	v_mul_f64 v[18:19], v[41:42], v[92:93]
	v_mul_f64 v[20:21], v[39:40], v[92:93]
	s_waitcnt vmcnt(27)
	v_mul_f64 v[22:23], v[45:46], v[124:125]
	s_waitcnt vmcnt(26)
	v_mul_f64 v[26:27], v[49:50], v[100:101]
	v_fma_f64 v[10:11], v[31:32], v[130:131], v[10:11]
	buffer_store_dword v130, off, s[52:55], 0 offset:188 ; 4-byte Folded Spill
	s_nop 0
	buffer_store_dword v131, off, s[52:55], 0 offset:192 ; 4-byte Folded Spill
	buffer_store_dword v132, off, s[52:55], 0 offset:196 ; 4-byte Folded Spill
	buffer_store_dword v133, off, s[52:55], 0 offset:200 ; 4-byte Folded Spill
	v_fma_f64 v[14:15], v[35:36], v[106:107], v[14:15]
	buffer_store_dword v106, off, s[52:55], 0 offset:92 ; 4-byte Folded Spill
	s_nop 0
	buffer_store_dword v107, off, s[52:55], 0 offset:96 ; 4-byte Folded Spill
	buffer_store_dword v108, off, s[52:55], 0 offset:100 ; 4-byte Folded Spill
	buffer_store_dword v109, off, s[52:55], 0 offset:104 ; 4-byte Folded Spill
	;; [unrolled: 6-line block ×3, first 2 shown]
	s_waitcnt vmcnt(35)
	v_mul_f64 v[30:31], v[53:54], v[112:113]
	v_mul_f64 v[24:25], v[43:44], v[124:125]
	v_fma_f64 v[22:23], v[43:44], v[122:123], v[22:23]
	buffer_store_dword v122, off, s[52:55], 0 offset:156 ; 4-byte Folded Spill
	s_nop 0
	buffer_store_dword v123, off, s[52:55], 0 offset:160 ; 4-byte Folded Spill
	buffer_store_dword v124, off, s[52:55], 0 offset:164 ; 4-byte Folded Spill
	;; [unrolled: 1-line block ×3, first 2 shown]
	v_mul_f64 v[28:29], v[47:48], v[100:101]
	v_fma_f64 v[26:27], v[47:48], v[98:99], v[26:27]
	buffer_store_dword v98, off, s[52:55], 0 offset:60 ; 4-byte Folded Spill
	s_nop 0
	buffer_store_dword v99, off, s[52:55], 0 offset:64 ; 4-byte Folded Spill
	buffer_store_dword v100, off, s[52:55], 0 offset:68 ; 4-byte Folded Spill
	;; [unrolled: 1-line block ×3, first 2 shown]
	v_cmp_gt_u16_e32 vcc, 14, v185
	v_fma_f64 v[30:31], v[51:52], v[110:111], v[30:31]
	v_fma_f64 v[12:13], v[33:34], v[130:131], -v[12:13]
	s_waitcnt vmcnt(42)
	v_mul_f64 v[34:35], v[57:58], v[84:85]
	v_fma_f64 v[16:17], v[37:38], v[106:107], -v[16:17]
	s_waitcnt vmcnt(40)
	v_mul_f64 v[38:39], v[61:62], v[116:117]
	v_mul_f64 v[32:33], v[51:52], v[112:113]
	buffer_store_dword v110, off, s[52:55], 0 offset:108 ; 4-byte Folded Spill
	s_nop 0
	buffer_store_dword v111, off, s[52:55], 0 offset:112 ; 4-byte Folded Spill
	buffer_store_dword v112, off, s[52:55], 0 offset:116 ; 4-byte Folded Spill
	;; [unrolled: 1-line block ×3, first 2 shown]
	v_mul_f64 v[36:37], v[55:56], v[84:85]
	v_fma_f64 v[20:21], v[41:42], v[90:91], -v[20:21]
	v_mul_f64 v[40:41], v[59:60], v[116:117]
	v_fma_f64 v[34:35], v[55:56], v[82:83], v[34:35]
	buffer_store_dword v82, off, s[52:55], 0 offset:12 ; 4-byte Folded Spill
	s_nop 0
	buffer_store_dword v83, off, s[52:55], 0 offset:16 ; 4-byte Folded Spill
	buffer_store_dword v84, off, s[52:55], 0 offset:20 ; 4-byte Folded Spill
	buffer_store_dword v85, off, s[52:55], 0 offset:24 ; 4-byte Folded Spill
	v_fma_f64 v[38:39], v[59:60], v[114:115], v[38:39]
	buffer_store_dword v114, off, s[52:55], 0 offset:124 ; 4-byte Folded Spill
	s_nop 0
	buffer_store_dword v115, off, s[52:55], 0 offset:128 ; 4-byte Folded Spill
	buffer_store_dword v116, off, s[52:55], 0 offset:132 ; 4-byte Folded Spill
	;; [unrolled: 1-line block ×3, first 2 shown]
	v_fma_f64 v[24:25], v[45:46], v[122:123], -v[24:25]
	v_fma_f64 v[28:29], v[49:50], v[98:99], -v[28:29]
	v_fma_f64 v[32:33], v[53:54], v[110:111], -v[32:33]
	v_fma_f64 v[36:37], v[57:58], v[82:83], -v[36:37]
	v_fma_f64 v[40:41], v[61:62], v[114:115], -v[40:41]
	ds_write_b128 v178, v[10:13] offset:8400
	ds_write_b128 v178, v[14:17] offset:10080
	;; [unrolled: 1-line block ×8, first 2 shown]
	s_and_saveexec_b64 s[14:15], vcc
	s_cbranch_execz .LBB0_3
; %bb.2:
	v_mov_b32_e32 v10, 0xffffb6f0
	v_mad_u64_u32 v[12:13], s[18:19], s0, v10, v[8:9]
	s_mulk_i32 s1, 0xb6f0
	s_sub_i32 s0, s1, s0
	v_add_u32_e32 v13, s0, v13
	v_mov_b32_e32 v100, s13
	v_add_co_u32_e64 v24, s[0:1], s12, v12
	global_load_dwordx4 v[8:11], v[12:13], off
	v_addc_co_u32_e64 v25, s[0:1], v13, v100, s[0:1]
	global_load_dwordx4 v[12:15], v[24:25], off
	global_load_dwordx4 v[16:19], v[96:97], off offset:1456
	global_load_dwordx4 v[20:23], v[96:97], off offset:3136
	v_add_co_u32_e64 v28, s[0:1], s12, v24
	v_addc_co_u32_e64 v29, s[0:1], v25, v100, s[0:1]
	v_add_co_u32_e64 v40, s[0:1], s12, v28
	v_addc_co_u32_e64 v41, s[0:1], v29, v100, s[0:1]
	v_add_co_u32_e64 v44, s[0:1], s12, v40
	global_load_dwordx4 v[24:27], v[28:29], off
	v_addc_co_u32_e64 v45, s[0:1], v41, v100, s[0:1]
	global_load_dwordx4 v[28:31], v[40:41], off
	global_load_dwordx4 v[32:35], v[0:1], off offset:720
	global_load_dwordx4 v[36:39], v[0:1], off offset:2400
	v_add_co_u32_e64 v56, s[0:1], s12, v44
	global_load_dwordx4 v[40:43], v[44:45], off
	v_addc_co_u32_e64 v57, s[0:1], v45, v100, s[0:1]
	global_load_dwordx4 v[44:47], v[56:57], off
	global_load_dwordx4 v[48:51], v[0:1], off offset:4080
	global_load_dwordx4 v[52:55], v[2:3], off offset:1664
	v_add_co_u32_e64 v0, s[0:1], s12, v56
	v_addc_co_u32_e64 v1, s[0:1], v57, v100, s[0:1]
	v_add_co_u32_e64 v68, s[0:1], s12, v0
	v_addc_co_u32_e64 v69, s[0:1], v1, v100, s[0:1]
	;; [unrolled: 2-line block ×3, first 2 shown]
	v_add_co_u32_e64 v84, s[0:1], s12, v72
	global_load_dwordx4 v[56:59], v[0:1], off
	global_load_dwordx4 v[60:63], v[68:69], off
	global_load_dwordx4 v[64:67], v[2:3], off offset:3344
                                        ; kill: killed $vgpr2 killed $vgpr3
	s_nop 0
	global_load_dwordx4 v[0:3], v[4:5], off offset:928
	global_load_dwordx4 v[68:71], v[72:73], off
	v_addc_co_u32_e64 v85, s[0:1], v73, v100, s[0:1]
	global_load_dwordx4 v[72:75], v[84:85], off
	global_load_dwordx4 v[76:79], v[4:5], off offset:2608
	global_load_dwordx4 v[80:83], v[6:7], off offset:192
	v_add_co_u32_e64 v4, s[0:1], s12, v84
	v_addc_co_u32_e64 v5, s[0:1], v85, v100, s[0:1]
	v_add_co_u32_e64 v98, s[0:1], s12, v4
	v_addc_co_u32_e64 v99, s[0:1], v5, v100, s[0:1]
	;; [unrolled: 2-line block ×3, first 2 shown]
	s_movk_i32 s0, 0x5000
	global_load_dwordx4 v[84:87], v[4:5], off
	global_load_dwordx4 v[88:91], v[98:99], off
	global_load_dwordx4 v[92:95], v[6:7], off offset:1872
	s_nop 0
	global_load_dwordx4 v[4:7], v[6:7], off offset:3552
	v_add_co_u32_e64 v98, s[0:1], s0, v96
	v_addc_co_u32_e64 v99, s[0:1], 0, v97, s[0:1]
	global_load_dwordx4 v[98:101], v[98:99], off offset:1136
	s_nop 0
	global_load_dwordx4 v[102:105], v[102:103], off
	s_waitcnt vmcnt(23)
	v_mul_f64 v[106:107], v[10:11], v[18:19]
	v_mul_f64 v[18:19], v[8:9], v[18:19]
	s_waitcnt vmcnt(22)
	v_mul_f64 v[108:109], v[14:15], v[22:23]
	v_mul_f64 v[22:23], v[12:13], v[22:23]
	v_fma_f64 v[8:9], v[8:9], v[16:17], v[106:107]
	v_fma_f64 v[10:11], v[10:11], v[16:17], -v[18:19]
	v_fma_f64 v[12:13], v[12:13], v[20:21], v[108:109]
	v_fma_f64 v[14:15], v[14:15], v[20:21], -v[22:23]
	s_waitcnt vmcnt(19)
	v_mul_f64 v[110:111], v[26:27], v[34:35]
	v_mul_f64 v[34:35], v[24:25], v[34:35]
	s_waitcnt vmcnt(18)
	v_mul_f64 v[112:113], v[30:31], v[38:39]
	v_mul_f64 v[38:39], v[28:29], v[38:39]
	;; [unrolled: 3-line block ×3, first 2 shown]
	v_fma_f64 v[16:17], v[24:25], v[32:33], v[110:111]
	v_fma_f64 v[18:19], v[26:27], v[32:33], -v[34:35]
	v_fma_f64 v[20:21], v[28:29], v[36:37], v[112:113]
	v_fma_f64 v[22:23], v[30:31], v[36:37], -v[38:39]
	;; [unrolled: 2-line block ×3, first 2 shown]
	ds_write_b128 v178, v[8:11] offset:1456
	ds_write_b128 v178, v[12:15] offset:3136
	;; [unrolled: 1-line block ×5, first 2 shown]
	s_waitcnt vmcnt(14)
	v_mul_f64 v[8:9], v[46:47], v[54:55]
	v_mul_f64 v[10:11], v[44:45], v[54:55]
	s_waitcnt vmcnt(11)
	v_mul_f64 v[12:13], v[58:59], v[66:67]
	s_waitcnt vmcnt(10)
	v_mul_f64 v[16:17], v[62:63], v[2:3]
	v_mul_f64 v[2:3], v[60:61], v[2:3]
	;; [unrolled: 1-line block ×3, first 2 shown]
	s_waitcnt vmcnt(7)
	v_mul_f64 v[20:21], v[70:71], v[78:79]
	v_mul_f64 v[22:23], v[68:69], v[78:79]
	v_fma_f64 v[8:9], v[44:45], v[52:53], v[8:9]
	v_fma_f64 v[10:11], v[46:47], v[52:53], -v[10:11]
	v_fma_f64 v[12:13], v[56:57], v[64:65], v[12:13]
	v_fma_f64 v[16:17], v[60:61], v[0:1], v[16:17]
	v_fma_f64 v[18:19], v[62:63], v[0:1], -v[2:3]
	v_fma_f64 v[14:15], v[58:59], v[64:65], -v[14:15]
	v_fma_f64 v[0:1], v[68:69], v[76:77], v[20:21]
	v_fma_f64 v[2:3], v[70:71], v[76:77], -v[22:23]
	s_waitcnt vmcnt(6)
	v_mul_f64 v[20:21], v[74:75], v[82:83]
	v_mul_f64 v[22:23], v[72:73], v[82:83]
	s_waitcnt vmcnt(3)
	v_mul_f64 v[24:25], v[86:87], v[94:95]
	v_mul_f64 v[26:27], v[84:85], v[94:95]
	;; [unrolled: 3-line block ×3, first 2 shown]
	v_fma_f64 v[20:21], v[72:73], v[80:81], v[20:21]
	v_fma_f64 v[22:23], v[74:75], v[80:81], -v[22:23]
	s_waitcnt vmcnt(0)
	v_mul_f64 v[32:33], v[104:105], v[100:101]
	v_mul_f64 v[34:35], v[102:103], v[100:101]
	v_fma_f64 v[24:25], v[84:85], v[92:93], v[24:25]
	v_fma_f64 v[26:27], v[86:87], v[92:93], -v[26:27]
	v_fma_f64 v[28:29], v[88:89], v[4:5], v[28:29]
	v_fma_f64 v[30:31], v[90:91], v[4:5], -v[6:7]
	;; [unrolled: 2-line block ×3, first 2 shown]
	ds_write_b128 v178, v[8:11] offset:9856
	ds_write_b128 v178, v[12:15] offset:11536
	;; [unrolled: 1-line block ×8, first 2 shown]
.LBB0_3:
	s_or_b64 exec, exec, s[14:15]
	s_waitcnt vmcnt(0) lgkmcnt(0)
	s_barrier
	ds_read_b128 v[40:43], v178
	ds_read_b128 v[76:79], v178 offset:1680
	ds_read_b128 v[44:47], v178 offset:3360
	ds_read_b128 v[32:35], v178 offset:5040
	ds_read_b128 v[24:27], v178 offset:6720
	ds_read_b128 v[16:19], v178 offset:8400
	ds_read_b128 v[4:7], v178 offset:10080
	ds_read_b128 v[12:15], v178 offset:11760
	ds_read_b128 v[20:23], v178 offset:13440
	ds_read_b128 v[28:31], v178 offset:15120
	ds_read_b128 v[36:39], v178 offset:16800
	ds_read_b128 v[48:51], v178 offset:18480
	ds_read_b128 v[8:11], v178 offset:20160
                                        ; implicit-def: $vgpr52_vgpr53
                                        ; implicit-def: $vgpr56_vgpr57
                                        ; implicit-def: $vgpr60_vgpr61
                                        ; implicit-def: $vgpr64_vgpr65
                                        ; implicit-def: $vgpr68_vgpr69
                                        ; implicit-def: $vgpr72_vgpr73
                                        ; implicit-def: $vgpr88_vgpr89
                                        ; implicit-def: $vgpr92_vgpr93
                                        ; implicit-def: $vgpr104_vgpr105
                                        ; implicit-def: $vgpr108_vgpr109
                                        ; implicit-def: $vgpr112_vgpr113
                                        ; implicit-def: $vgpr116_vgpr117
                                        ; implicit-def: $vgpr0_vgpr1
	s_and_saveexec_b64 s[0:1], vcc
	s_cbranch_execz .LBB0_5
; %bb.4:
	ds_read_b128 v[52:55], v178 offset:1456
	ds_read_b128 v[56:59], v178 offset:3136
	;; [unrolled: 1-line block ×13, first 2 shown]
.LBB0_5:
	s_or_b64 exec, exec, s[0:1]
	s_waitcnt lgkmcnt(11)
	v_add_f64 v[82:83], v[42:43], v[78:79]
	v_add_f64 v[80:81], v[40:41], v[76:77]
	s_waitcnt lgkmcnt(0)
	v_add_f64 v[84:85], v[76:77], v[8:9]
	v_add_f64 v[86:87], v[78:79], v[10:11]
	v_add_f64 v[76:77], v[76:77], -v[8:9]
	v_add_f64 v[78:79], v[78:79], -v[10:11]
	s_mov_b32 s36, 0x66966769
	s_mov_b32 s22, 0x2ef20147
	v_add_f64 v[82:83], v[82:83], v[46:47]
	v_add_f64 v[80:81], v[80:81], v[44:45]
	s_mov_b32 s26, 0x24c2f84
	s_mov_b32 s37, 0xbfefc445
	;; [unrolled: 1-line block ×4, first 2 shown]
	v_mul_f64 v[124:125], v[78:79], s[36:37]
	v_mul_f64 v[126:127], v[76:77], s[36:37]
	v_add_f64 v[82:83], v[82:83], v[34:35]
	v_add_f64 v[80:81], v[80:81], v[32:33]
	v_mul_f64 v[128:129], v[78:79], s[22:23]
	v_mul_f64 v[130:131], v[76:77], s[22:23]
	;; [unrolled: 1-line block ×3, first 2 shown]
	s_load_dwordx2 s[12:13], s[4:5], 0x8
	s_mov_b32 s4, 0xebaa3ed8
	s_mov_b32 s20, 0xb2365da1
	v_add_f64 v[82:83], v[82:83], v[26:27]
	v_add_f64 v[80:81], v[80:81], v[24:25]
	s_mov_b32 s24, 0xd0032e0c
	s_mov_b32 s5, 0x3fbedb7d
	s_mov_b32 s21, 0xbfd6b1d8
	s_mov_b32 s25, 0xbfe7f3cc
	v_fma_f64 v[144:145], v[84:85], s[4:5], -v[124:125]
	v_fma_f64 v[146:147], v[86:87], s[4:5], v[126:127]
	v_add_f64 v[98:99], v[82:83], v[18:19]
	v_add_f64 v[80:81], v[80:81], v[16:17]
	v_fma_f64 v[124:125], v[84:85], s[4:5], v[124:125]
	v_fma_f64 v[126:127], v[86:87], s[4:5], -v[126:127]
	v_fma_f64 v[148:149], v[84:85], s[20:21], -v[128:129]
	v_fma_f64 v[150:151], v[86:87], s[20:21], v[130:131]
	v_fma_f64 v[152:153], v[84:85], s[24:25], -v[132:133]
	s_movk_i32 s0, 0x5b
	v_add_f64 v[98:99], v[98:99], v[6:7]
	v_add_f64 v[80:81], v[80:81], v[4:5]
	v_add_co_u32_e64 v82, s[0:1], s0, v185
	s_mov_b32 s46, 0x4267c47c
	s_mov_b32 s28, 0x42a4c3d2
	;; [unrolled: 1-line block ×4, first 2 shown]
	v_add_f64 v[98:99], v[98:99], v[14:15]
	v_add_f64 v[80:81], v[80:81], v[12:13]
	s_mov_b32 s29, 0xbfea55e2
	s_mov_b32 s1, 0xbfcea1e5
	v_mul_f64 v[100:101], v[78:79], s[46:47]
	v_mul_f64 v[102:103], v[76:77], s[46:47]
	;; [unrolled: 1-line block ×4, first 2 shown]
	v_add_f64 v[98:99], v[98:99], v[22:23]
	v_add_f64 v[80:81], v[80:81], v[20:21]
	v_mul_f64 v[134:135], v[76:77], s[26:27]
	v_mul_f64 v[78:79], v[78:79], s[0:1]
	;; [unrolled: 1-line block ×3, first 2 shown]
	s_mov_b32 s18, 0xe00740e9
	s_mov_b32 s14, 0x1ea71119
	;; [unrolled: 1-line block ×3, first 2 shown]
	v_add_f64 v[98:99], v[98:99], v[30:31]
	v_add_f64 v[80:81], v[80:81], v[28:29]
	s_mov_b32 s19, 0x3fec55a7
	s_mov_b32 s15, 0x3fe22d96
	;; [unrolled: 1-line block ×3, first 2 shown]
	v_fma_f64 v[136:137], v[84:85], s[18:19], -v[100:101]
	v_fma_f64 v[138:139], v[86:87], s[18:19], v[102:103]
	v_fma_f64 v[100:101], v[84:85], s[18:19], v[100:101]
	v_add_f64 v[98:99], v[98:99], v[38:39]
	v_add_f64 v[80:81], v[80:81], v[36:37]
	v_fma_f64 v[102:103], v[86:87], s[18:19], -v[102:103]
	v_fma_f64 v[140:141], v[84:85], s[14:15], -v[120:121]
	v_fma_f64 v[142:143], v[86:87], s[14:15], v[122:123]
	v_fma_f64 v[120:121], v[84:85], s[14:15], v[120:121]
	v_fma_f64 v[122:123], v[86:87], s[14:15], -v[122:123]
	v_fma_f64 v[128:129], v[84:85], s[20:21], v[128:129]
	v_add_f64 v[98:99], v[98:99], v[50:51]
	v_add_f64 v[80:81], v[80:81], v[48:49]
	v_fma_f64 v[130:131], v[86:87], s[20:21], -v[130:131]
	v_fma_f64 v[132:133], v[84:85], s[24:25], v[132:133]
	v_add_f64 v[154:155], v[44:45], -v[48:49]
	v_add_f64 v[44:45], v[44:45], v[48:49]
	v_fma_f64 v[156:157], v[84:85], s[30:31], -v[78:79]
	v_fma_f64 v[158:159], v[86:87], s[30:31], v[76:77]
	v_add_f64 v[10:11], v[98:99], v[10:11]
	v_add_f64 v[98:99], v[40:41], v[124:125]
	;; [unrolled: 1-line block ×6, first 2 shown]
	v_add_f64 v[152:153], v[46:47], -v[50:51]
	v_add_f64 v[8:9], v[80:81], v[8:9]
	v_fma_f64 v[80:81], v[86:87], s[24:25], v[134:135]
	v_fma_f64 v[134:135], v[86:87], s[24:25], -v[134:135]
	v_fma_f64 v[78:79], v[84:85], s[30:31], v[78:79]
	v_fma_f64 v[76:77], v[86:87], s[30:31], -v[76:77]
	v_add_f64 v[136:137], v[40:41], v[136:137]
	v_add_f64 v[138:139], v[42:43], v[138:139]
	v_mul_f64 v[48:49], v[152:153], s[28:29]
	v_add_f64 v[100:101], v[40:41], v[100:101]
	v_add_f64 v[102:103], v[42:43], v[102:103]
	;; [unrolled: 1-line block ×12, first 2 shown]
	v_mul_f64 v[50:51], v[154:155], s[28:29]
	v_add_f64 v[83:84], v[40:41], v[132:133]
	v_add_f64 v[85:86], v[42:43], v[134:135]
	v_fma_f64 v[132:133], v[44:45], s[14:15], -v[48:49]
	v_add_f64 v[156:157], v[40:41], v[156:157]
	v_add_f64 v[158:159], v[42:43], v[158:159]
	;; [unrolled: 1-line block ×4, first 2 shown]
	v_mul_f64 v[76:77], v[152:153], s[22:23]
	v_mul_f64 v[78:79], v[154:155], s[22:23]
	v_fma_f64 v[134:135], v[46:47], s[14:15], v[50:51]
	v_add_f64 v[132:133], v[132:133], v[136:137]
	v_mul_f64 v[136:137], v[152:153], s[0:1]
	v_fma_f64 v[48:49], v[44:45], s[14:15], v[48:49]
	v_fma_f64 v[50:51], v[46:47], s[14:15], -v[50:51]
	s_mov_b32 s41, 0x3fe5384d
	v_fma_f64 v[160:161], v[44:45], s[20:21], -v[76:77]
	v_fma_f64 v[162:163], v[46:47], s[20:21], v[78:79]
	s_mov_b32 s40, s26
	v_fma_f64 v[76:77], v[44:45], s[20:21], v[76:77]
	v_fma_f64 v[164:165], v[44:45], s[30:31], -v[136:137]
	v_add_f64 v[48:49], v[48:49], v[100:101]
	v_add_f64 v[50:51], v[50:51], v[102:103]
	s_mov_b32 s35, 0x3fefc445
	v_add_f64 v[100:101], v[160:161], v[140:141]
	v_add_f64 v[102:103], v[162:163], v[142:143]
	v_mul_f64 v[140:141], v[152:153], s[40:41]
	v_mul_f64 v[142:143], v[154:155], s[40:41]
	s_mov_b32 s34, s36
	v_add_f64 v[134:135], v[134:135], v[138:139]
	v_mul_f64 v[138:139], v[154:155], s[0:1]
	v_add_f64 v[76:77], v[76:77], v[120:121]
	v_add_f64 v[120:121], v[164:165], v[144:145]
	v_mul_f64 v[144:145], v[152:153], s[34:35]
	v_fma_f64 v[160:161], v[44:45], s[24:25], -v[140:141]
	v_fma_f64 v[162:163], v[46:47], s[24:25], v[142:143]
	v_fma_f64 v[140:141], v[44:45], s[24:25], v[140:141]
	v_fma_f64 v[142:143], v[46:47], s[24:25], -v[142:143]
	v_fma_f64 v[78:79], v[46:47], s[20:21], -v[78:79]
	v_fma_f64 v[166:167], v[46:47], s[30:31], v[138:139]
	v_fma_f64 v[136:137], v[44:45], s[30:31], v[136:137]
	v_fma_f64 v[138:139], v[46:47], s[30:31], -v[138:139]
	v_fma_f64 v[164:165], v[44:45], s[4:5], -v[144:145]
	s_mov_b32 s39, 0x3fddbe06
	v_add_f64 v[128:129], v[140:141], v[128:129]
	v_add_f64 v[130:131], v[142:143], v[130:131]
	v_add_f64 v[140:141], v[34:35], -v[38:39]
	v_add_f64 v[142:143], v[32:33], -v[36:37]
	s_mov_b32 s38, s46
	v_add_f64 v[78:79], v[78:79], v[122:123]
	v_add_f64 v[122:123], v[166:167], v[146:147]
	v_mul_f64 v[146:147], v[154:155], s[34:35]
	v_add_f64 v[98:99], v[136:137], v[98:99]
	v_add_f64 v[124:125], v[138:139], v[124:125]
	;; [unrolled: 1-line block ×4, first 2 shown]
	v_mul_f64 v[148:149], v[152:153], s[38:39]
	v_mul_f64 v[150:151], v[154:155], s[38:39]
	v_add_f64 v[32:33], v[32:33], v[36:37]
	v_add_f64 v[34:35], v[34:35], v[38:39]
	v_mul_f64 v[36:37], v[140:141], s[36:37]
	v_mul_f64 v[38:39], v[142:143], s[36:37]
	v_fma_f64 v[166:167], v[46:47], s[4:5], v[146:147]
	v_fma_f64 v[144:145], v[44:45], s[4:5], v[144:145]
	v_fma_f64 v[146:147], v[46:47], s[4:5], -v[146:147]
	v_fma_f64 v[152:153], v[44:45], s[18:19], -v[148:149]
	v_fma_f64 v[154:155], v[46:47], s[18:19], v[150:151]
	v_fma_f64 v[44:45], v[44:45], s[18:19], v[148:149]
	v_fma_f64 v[46:47], v[46:47], s[18:19], -v[150:151]
	v_fma_f64 v[148:149], v[32:33], s[4:5], -v[36:37]
	v_fma_f64 v[150:151], v[34:35], s[4:5], v[38:39]
	s_mov_b32 s49, 0x3fedeba7
	s_mov_b32 s48, s22
	v_fma_f64 v[36:37], v[32:33], s[4:5], v[36:37]
	v_add_f64 v[83:84], v[144:145], v[83:84]
	v_add_f64 v[40:41], v[44:45], v[40:41]
	v_add_f64 v[42:43], v[46:47], v[42:43]
	v_add_f64 v[44:45], v[148:149], v[132:133]
	v_add_f64 v[46:47], v[150:151], v[134:135]
	v_mul_f64 v[132:133], v[140:141], s[0:1]
	v_mul_f64 v[134:135], v[142:143], s[0:1]
	;; [unrolled: 1-line block ×3, first 2 shown]
	v_add_f64 v[85:86], v[146:147], v[85:86]
	v_add_f64 v[144:145], v[152:153], v[156:157]
	;; [unrolled: 1-line block ×3, first 2 shown]
	v_fma_f64 v[38:39], v[34:35], s[4:5], -v[38:39]
	v_mul_f64 v[150:151], v[142:143], s[48:49]
	v_fma_f64 v[152:153], v[32:33], s[30:31], -v[132:133]
	v_fma_f64 v[154:155], v[34:35], s[30:31], v[134:135]
	v_fma_f64 v[132:133], v[32:33], s[30:31], v[132:133]
	v_fma_f64 v[134:135], v[34:35], s[30:31], -v[134:135]
	v_add_f64 v[36:37], v[36:37], v[48:49]
	v_fma_f64 v[48:49], v[32:33], s[20:21], -v[148:149]
	v_add_f64 v[38:39], v[38:39], v[50:51]
	v_fma_f64 v[50:51], v[34:35], s[20:21], v[150:151]
	v_add_f64 v[100:101], v[152:153], v[100:101]
	v_add_f64 v[102:103], v[154:155], v[102:103]
	;; [unrolled: 1-line block ×4, first 2 shown]
	v_mul_f64 v[132:133], v[140:141], s[38:39]
	v_mul_f64 v[134:135], v[142:143], s[38:39]
	v_add_f64 v[48:49], v[48:49], v[120:121]
	v_mul_f64 v[120:121], v[140:141], s[28:29]
	v_add_f64 v[50:51], v[50:51], v[122:123]
	v_mul_f64 v[122:123], v[142:143], s[28:29]
	v_fma_f64 v[148:149], v[32:33], s[20:21], v[148:149]
	v_fma_f64 v[150:151], v[34:35], s[20:21], -v[150:151]
	v_fma_f64 v[152:153], v[32:33], s[18:19], -v[132:133]
	v_fma_f64 v[154:155], v[34:35], s[18:19], v[134:135]
	v_fma_f64 v[132:133], v[32:33], s[18:19], v[132:133]
	v_fma_f64 v[134:135], v[34:35], s[18:19], -v[134:135]
	v_fma_f64 v[156:157], v[32:33], s[14:15], -v[120:121]
	v_mul_f64 v[140:141], v[140:141], s[26:27]
	v_mul_f64 v[142:143], v[142:143], s[26:27]
	v_fma_f64 v[158:159], v[34:35], s[14:15], v[122:123]
	v_add_f64 v[98:99], v[148:149], v[98:99]
	v_add_f64 v[124:125], v[150:151], v[124:125]
	;; [unrolled: 1-line block ×5, first 2 shown]
	v_add_f64 v[134:135], v[26:27], -v[30:31]
	v_add_f64 v[138:139], v[24:25], -v[28:29]
	v_fma_f64 v[120:121], v[32:33], s[14:15], v[120:121]
	v_fma_f64 v[122:123], v[34:35], s[14:15], -v[122:123]
	v_fma_f64 v[148:149], v[32:33], s[24:25], -v[140:141]
	v_fma_f64 v[150:151], v[34:35], s[24:25], v[142:143]
	v_fma_f64 v[32:33], v[32:33], s[24:25], v[140:141]
	v_fma_f64 v[34:35], v[34:35], s[24:25], -v[142:143]
	v_add_f64 v[24:25], v[24:25], v[28:29]
	v_add_f64 v[26:27], v[26:27], v[30:31]
	v_mul_f64 v[28:29], v[134:135], s[22:23]
	v_mul_f64 v[30:31], v[138:139], s[22:23]
	v_add_f64 v[83:84], v[120:121], v[83:84]
	v_add_f64 v[140:141], v[148:149], v[144:145]
	;; [unrolled: 1-line block ×4, first 2 shown]
	v_mul_f64 v[40:41], v[134:135], s[40:41]
	v_mul_f64 v[42:43], v[138:139], s[40:41]
	v_fma_f64 v[120:121], v[24:25], s[20:21], -v[28:29]
	v_add_f64 v[142:143], v[150:151], v[146:147]
	v_add_f64 v[85:86], v[122:123], v[85:86]
	v_fma_f64 v[122:123], v[26:27], s[20:21], v[30:31]
	v_fma_f64 v[28:29], v[24:25], s[20:21], v[28:29]
	v_fma_f64 v[30:31], v[26:27], s[20:21], -v[30:31]
	v_fma_f64 v[144:145], v[24:25], s[24:25], -v[40:41]
	v_fma_f64 v[146:147], v[26:27], s[24:25], v[42:43]
	v_fma_f64 v[40:41], v[24:25], s[24:25], v[40:41]
	v_fma_f64 v[42:43], v[26:27], s[24:25], -v[42:43]
	v_add_f64 v[44:45], v[120:121], v[44:45]
	v_mul_f64 v[120:121], v[134:135], s[38:39]
	s_mov_b32 s45, 0x3fcea1e5
	s_mov_b32 s44, s0
	v_add_f64 v[126:127], v[160:161], v[126:127]
	v_add_f64 v[46:47], v[122:123], v[46:47]
	;; [unrolled: 1-line block ×4, first 2 shown]
	v_mul_f64 v[76:77], v[134:135], s[36:37]
	v_mul_f64 v[78:79], v[138:139], s[36:37]
	;; [unrolled: 1-line block ×3, first 2 shown]
	v_fma_f64 v[148:149], v[24:25], s[18:19], -v[120:121]
	v_add_f64 v[28:29], v[28:29], v[36:37]
	v_add_f64 v[30:31], v[30:31], v[38:39]
	;; [unrolled: 1-line block ×4, first 2 shown]
	v_mul_f64 v[100:101], v[134:135], s[44:45]
	v_fma_f64 v[144:145], v[24:25], s[4:5], -v[76:77]
	v_fma_f64 v[146:147], v[26:27], s[4:5], v[78:79]
	v_fma_f64 v[76:77], v[24:25], s[4:5], v[76:77]
	v_fma_f64 v[78:79], v[26:27], s[4:5], -v[78:79]
	v_add_f64 v[126:127], v[152:153], v[126:127]
	v_fma_f64 v[150:151], v[26:27], s[18:19], v[122:123]
	v_add_f64 v[48:49], v[148:149], v[48:49]
	v_mul_f64 v[102:103], v[138:139], s[44:45]
	v_fma_f64 v[120:121], v[24:25], s[18:19], v[120:121]
	v_fma_f64 v[122:123], v[26:27], s[18:19], -v[122:123]
	v_fma_f64 v[148:149], v[24:25], s[30:31], -v[100:101]
	v_add_f64 v[76:77], v[76:77], v[128:129]
	v_add_f64 v[78:79], v[78:79], v[130:131]
	v_add_f64 v[128:129], v[18:19], -v[22:23]
	v_add_f64 v[130:131], v[16:17], -v[20:21]
	s_mov_b32 s43, 0x3fea55e2
	s_mov_b32 s42, s28
	v_add_f64 v[136:137], v[154:155], v[136:137]
	v_add_f64 v[50:51], v[150:151], v[50:51]
	v_fma_f64 v[150:151], v[26:27], s[30:31], v[102:103]
	v_add_f64 v[98:99], v[120:121], v[98:99]
	v_add_f64 v[120:121], v[122:123], v[124:125]
	;; [unrolled: 1-line block ×4, first 2 shown]
	v_mul_f64 v[132:133], v[134:135], s[42:43]
	v_mul_f64 v[134:135], v[138:139], s[42:43]
	v_fma_f64 v[100:101], v[24:25], s[30:31], v[100:101]
	v_fma_f64 v[102:103], v[26:27], s[30:31], -v[102:103]
	v_add_f64 v[16:17], v[16:17], v[20:21]
	v_add_f64 v[18:19], v[18:19], v[22:23]
	v_mul_f64 v[20:21], v[128:129], s[26:27]
	v_mul_f64 v[22:23], v[130:131], s[26:27]
	v_add_f64 v[124:125], v[146:147], v[136:137]
	v_fma_f64 v[136:137], v[24:25], s[14:15], -v[132:133]
	v_fma_f64 v[138:139], v[26:27], s[14:15], v[134:135]
	v_fma_f64 v[24:25], v[24:25], s[14:15], v[132:133]
	v_fma_f64 v[26:27], v[26:27], s[14:15], -v[134:135]
	v_add_f64 v[83:84], v[100:101], v[83:84]
	v_add_f64 v[85:86], v[102:103], v[85:86]
	v_fma_f64 v[100:101], v[16:17], s[24:25], -v[20:21]
	v_fma_f64 v[102:103], v[18:19], s[24:25], v[22:23]
	v_fma_f64 v[20:21], v[16:17], s[24:25], v[20:21]
	v_fma_f64 v[22:23], v[18:19], s[24:25], -v[22:23]
	v_add_f64 v[24:25], v[24:25], v[32:33]
	v_add_f64 v[26:27], v[26:27], v[34:35]
	v_mul_f64 v[32:33], v[128:129], s[34:35]
	v_mul_f64 v[34:35], v[130:131], s[34:35]
	v_add_f64 v[44:45], v[100:101], v[44:45]
	v_add_f64 v[46:47], v[102:103], v[46:47]
	v_mul_f64 v[100:101], v[128:129], s[28:29]
	v_mul_f64 v[102:103], v[130:131], s[28:29]
	v_add_f64 v[80:81], v[166:167], v[80:81]
	v_add_f64 v[132:133], v[136:137], v[140:141]
	;; [unrolled: 1-line block ×3, first 2 shown]
	v_fma_f64 v[136:137], v[16:17], s[4:5], -v[32:33]
	v_fma_f64 v[138:139], v[18:19], s[4:5], v[34:35]
	v_fma_f64 v[32:33], v[16:17], s[4:5], v[32:33]
	v_fma_f64 v[34:35], v[18:19], s[4:5], -v[34:35]
	v_add_f64 v[20:21], v[20:21], v[28:29]
	v_add_f64 v[22:23], v[22:23], v[30:31]
	v_fma_f64 v[28:29], v[16:17], s[14:15], -v[100:101]
	v_fma_f64 v[30:31], v[18:19], s[14:15], v[102:103]
	v_add_f64 v[80:81], v[158:159], v[80:81]
	v_add_f64 v[136:137], v[136:137], v[36:37]
	;; [unrolled: 1-line block ×5, first 2 shown]
	v_mul_f64 v[36:37], v[128:129], s[44:45]
	v_mul_f64 v[38:39], v[130:131], s[44:45]
	v_add_f64 v[40:41], v[28:29], v[48:49]
	v_add_f64 v[42:43], v[30:31], v[50:51]
	v_mul_f64 v[28:29], v[128:129], s[38:39]
	v_mul_f64 v[30:31], v[130:131], s[38:39]
	v_add_f64 v[80:81], v[150:151], v[80:81]
	v_fma_f64 v[48:49], v[16:17], s[14:15], v[100:101]
	v_fma_f64 v[50:51], v[18:19], s[14:15], -v[102:103]
	v_fma_f64 v[100:101], v[16:17], s[30:31], -v[36:37]
	v_fma_f64 v[102:103], v[18:19], s[30:31], v[38:39]
	v_fma_f64 v[36:37], v[16:17], s[30:31], v[36:37]
	v_fma_f64 v[38:39], v[18:19], s[30:31], -v[38:39]
	v_fma_f64 v[140:141], v[16:17], s[18:19], -v[28:29]
	v_fma_f64 v[142:143], v[18:19], s[18:19], v[30:31]
	v_add_f64 v[48:49], v[48:49], v[98:99]
	v_add_f64 v[50:51], v[50:51], v[120:121]
	;; [unrolled: 1-line block ×8, first 2 shown]
	v_add_f64 v[140:141], v[6:7], -v[14:15]
	v_add_f64 v[142:143], v[4:5], -v[12:13]
	v_mul_f64 v[36:37], v[128:129], s[22:23]
	v_mul_f64 v[38:39], v[130:131], s[22:23]
	v_fma_f64 v[28:29], v[16:17], s[18:19], v[28:29]
	v_fma_f64 v[30:31], v[18:19], s[18:19], -v[30:31]
	v_add_f64 v[4:5], v[4:5], v[12:13]
	v_add_f64 v[6:7], v[6:7], v[14:15]
	v_mul_f64 v[12:13], v[140:141], s[0:1]
	v_mul_f64 v[14:15], v[142:143], s[0:1]
	v_fma_f64 v[120:121], v[16:17], s[20:21], -v[36:37]
	v_fma_f64 v[122:123], v[18:19], s[20:21], v[38:39]
	v_fma_f64 v[16:17], v[16:17], s[20:21], v[36:37]
	v_fma_f64 v[18:19], v[18:19], s[20:21], -v[38:39]
	v_add_f64 v[83:84], v[28:29], v[83:84]
	v_add_f64 v[85:86], v[30:31], v[85:86]
	v_fma_f64 v[28:29], v[4:5], s[30:31], -v[12:13]
	v_fma_f64 v[30:31], v[6:7], s[30:31], v[14:15]
	v_fma_f64 v[12:13], v[4:5], s[30:31], v[12:13]
	v_fma_f64 v[14:15], v[6:7], s[30:31], -v[14:15]
	v_add_f64 v[16:17], v[16:17], v[24:25]
	v_add_f64 v[18:19], v[18:19], v[26:27]
	v_mul_f64 v[24:25], v[140:141], s[38:39]
	v_mul_f64 v[26:27], v[142:143], s[38:39]
	;; [unrolled: 1-line block ×4, first 2 shown]
	v_add_f64 v[144:145], v[120:121], v[132:133]
	v_add_f64 v[146:147], v[122:123], v[134:135]
	;; [unrolled: 1-line block ×4, first 2 shown]
	v_fma_f64 v[28:29], v[4:5], s[18:19], -v[24:25]
	v_fma_f64 v[30:31], v[6:7], s[18:19], v[26:27]
	v_fma_f64 v[120:121], v[4:5], s[18:19], v[24:25]
	v_fma_f64 v[122:123], v[6:7], s[18:19], -v[26:27]
	v_add_f64 v[24:25], v[12:13], v[20:21]
	v_add_f64 v[26:27], v[14:15], v[22:23]
	v_fma_f64 v[12:13], v[4:5], s[24:25], -v[124:125]
	v_fma_f64 v[14:15], v[6:7], s[24:25], v[126:127]
	v_mul_f64 v[20:21], v[140:141], s[42:43]
	v_mul_f64 v[22:23], v[142:143], s[42:43]
	v_add_f64 v[44:45], v[28:29], v[136:137]
	v_add_f64 v[46:47], v[30:31], v[138:139]
	;; [unrolled: 1-line block ×6, first 2 shown]
	v_mul_f64 v[12:13], v[140:141], s[22:23]
	v_mul_f64 v[14:15], v[142:143], s[22:23]
	v_fma_f64 v[32:33], v[4:5], s[24:25], v[124:125]
	v_fma_f64 v[34:35], v[6:7], s[24:25], -v[126:127]
	v_fma_f64 v[40:41], v[4:5], s[14:15], -v[20:21]
	v_fma_f64 v[42:43], v[6:7], s[14:15], v[22:23]
	v_fma_f64 v[20:21], v[4:5], s[14:15], v[20:21]
	v_fma_f64 v[22:23], v[6:7], s[14:15], -v[22:23]
	v_fma_f64 v[128:129], v[4:5], s[20:21], -v[12:13]
	v_fma_f64 v[130:131], v[6:7], s[20:21], v[14:15]
	v_add_f64 v[48:49], v[32:33], v[48:49]
	v_add_f64 v[50:51], v[34:35], v[50:51]
	v_mul_f64 v[32:33], v[140:141], s[34:35]
	v_mul_f64 v[34:35], v[142:143], s[34:35]
	v_add_f64 v[124:125], v[20:21], v[76:77]
	v_add_f64 v[126:127], v[22:23], v[78:79]
	v_add_f64 v[20:21], v[58:59], -v[2:3]
	v_add_f64 v[22:23], v[56:57], -v[0:1]
	v_add_f64 v[132:133], v[40:41], v[98:99]
	v_add_f64 v[134:135], v[42:43], v[100:101]
	;; [unrolled: 1-line block ×4, first 2 shown]
	v_fma_f64 v[12:13], v[4:5], s[20:21], v[12:13]
	v_fma_f64 v[14:15], v[6:7], s[20:21], -v[14:15]
	v_add_f64 v[40:41], v[56:57], v[0:1]
	v_add_f64 v[42:43], v[58:59], v[2:3]
	v_mul_f64 v[76:77], v[20:21], s[46:47]
	v_mul_f64 v[78:79], v[22:23], s[46:47]
	v_fma_f64 v[80:81], v[4:5], s[4:5], -v[32:33]
	v_fma_f64 v[98:99], v[6:7], s[4:5], v[34:35]
	v_fma_f64 v[4:5], v[4:5], s[4:5], v[32:33]
	v_fma_f64 v[6:7], v[6:7], s[4:5], -v[34:35]
	v_mul_f64 v[100:101], v[20:21], s[26:27]
	v_mul_f64 v[102:103], v[22:23], s[26:27]
	v_add_f64 v[156:157], v[62:63], -v[118:119]
	v_add_f64 v[158:159], v[60:61], -v[116:117]
	v_add_f64 v[136:137], v[12:13], v[83:84]
	v_add_f64 v[138:139], v[14:15], v[85:86]
	v_fma_f64 v[12:13], v[40:41], s[18:19], -v[76:77]
	v_fma_f64 v[14:15], v[42:43], s[18:19], v[78:79]
	v_add_f64 v[150:151], v[98:99], v[146:147]
	v_add_f64 v[140:141], v[4:5], v[16:17]
	;; [unrolled: 1-line block ×3, first 2 shown]
	v_mul_f64 v[4:5], v[20:21], s[28:29]
	v_mul_f64 v[6:7], v[22:23], s[28:29]
	;; [unrolled: 1-line block ×6, first 2 shown]
	v_fma_f64 v[152:153], v[40:41], s[24:25], -v[100:101]
	v_fma_f64 v[154:155], v[42:43], s[24:25], v[102:103]
	v_mul_f64 v[20:21], v[20:21], s[0:1]
	v_mul_f64 v[22:23], v[22:23], s[0:1]
	v_fma_f64 v[100:101], v[40:41], s[24:25], v[100:101]
	v_fma_f64 v[102:103], v[42:43], s[24:25], -v[102:103]
	v_add_f64 v[160:161], v[60:61], v[116:117]
	v_add_f64 v[162:163], v[62:63], v[118:119]
	v_mul_f64 v[164:165], v[156:157], s[28:29]
	v_mul_f64 v[166:167], v[158:159], s[28:29]
	v_add_f64 v[148:149], v[80:81], v[144:145]
	v_add_f64 v[12:13], v[52:53], v[12:13]
	;; [unrolled: 1-line block ×3, first 2 shown]
	v_fma_f64 v[16:17], v[40:41], s[18:19], v[76:77]
	v_fma_f64 v[18:19], v[42:43], s[18:19], -v[78:79]
	v_fma_f64 v[76:77], v[40:41], s[14:15], -v[4:5]
	v_fma_f64 v[78:79], v[42:43], s[14:15], v[6:7]
	v_fma_f64 v[4:5], v[40:41], s[14:15], v[4:5]
	v_fma_f64 v[6:7], v[42:43], s[14:15], -v[6:7]
	v_fma_f64 v[80:81], v[40:41], s[4:5], -v[32:33]
	v_fma_f64 v[83:84], v[42:43], s[4:5], v[34:35]
	;; [unrolled: 4-line block ×4, first 2 shown]
	v_fma_f64 v[20:21], v[40:41], s[30:31], v[20:21]
	v_fma_f64 v[22:23], v[42:43], s[30:31], -v[22:23]
	v_add_f64 v[40:41], v[52:53], v[100:101]
	v_add_f64 v[42:43], v[54:55], v[102:103]
	v_fma_f64 v[100:101], v[160:161], s[14:15], -v[164:165]
	v_fma_f64 v[102:103], v[162:163], s[14:15], v[166:167]
	v_add_f64 v[16:17], v[52:53], v[16:17]
	v_add_f64 v[18:19], v[54:55], v[18:19]
	v_mul_f64 v[172:173], v[156:157], s[22:23]
	v_mul_f64 v[174:175], v[158:159], s[22:23]
	v_add_f64 v[4:5], v[52:53], v[4:5]
	v_add_f64 v[6:7], v[54:55], v[6:7]
	;; [unrolled: 1-line block ×4, first 2 shown]
	v_fma_f64 v[100:101], v[160:161], s[14:15], v[164:165]
	v_fma_f64 v[102:103], v[162:163], s[14:15], -v[166:167]
	v_mul_f64 v[164:165], v[156:157], s[0:1]
	v_mul_f64 v[166:167], v[158:159], s[0:1]
	v_add_f64 v[80:81], v[52:53], v[80:81]
	v_add_f64 v[83:84], v[54:55], v[83:84]
	v_fma_f64 v[176:177], v[160:161], s[20:21], -v[172:173]
	v_fma_f64 v[179:180], v[162:163], s[20:21], v[174:175]
	v_fma_f64 v[172:173], v[160:161], s[20:21], v[172:173]
	v_fma_f64 v[174:175], v[162:163], s[20:21], -v[174:175]
	v_add_f64 v[16:17], v[100:101], v[16:17]
	v_add_f64 v[18:19], v[102:103], v[18:19]
	v_fma_f64 v[100:101], v[160:161], s[30:31], -v[164:165]
	v_fma_f64 v[102:103], v[162:163], s[30:31], v[166:167]
	v_add_f64 v[76:77], v[52:53], v[76:77]
	v_add_f64 v[78:79], v[54:55], v[78:79]
	;; [unrolled: 1-line block ×6, first 2 shown]
	v_mul_f64 v[172:173], v[156:157], s[40:41]
	v_mul_f64 v[174:175], v[158:159], s[40:41]
	v_add_f64 v[80:81], v[100:101], v[80:81]
	v_add_f64 v[83:84], v[102:103], v[83:84]
	v_mul_f64 v[100:101], v[156:157], s[34:35]
	v_mul_f64 v[102:103], v[158:159], s[34:35]
	v_fma_f64 v[164:165], v[160:161], s[30:31], v[164:165]
	v_fma_f64 v[166:167], v[162:163], s[30:31], -v[166:167]
	v_add_f64 v[144:145], v[52:53], v[144:145]
	v_add_f64 v[146:147], v[54:55], v[146:147]
	;; [unrolled: 1-line block ×8, first 2 shown]
	v_fma_f64 v[176:177], v[160:161], s[24:25], -v[172:173]
	v_fma_f64 v[179:180], v[162:163], s[24:25], v[174:175]
	v_fma_f64 v[172:173], v[160:161], s[24:25], v[172:173]
	v_fma_f64 v[174:175], v[162:163], s[24:25], -v[174:175]
	v_fma_f64 v[181:182], v[160:161], s[4:5], -v[100:101]
	v_fma_f64 v[183:184], v[162:163], s[4:5], v[102:103]
	v_add_f64 v[32:33], v[164:165], v[32:33]
	v_add_f64 v[34:35], v[166:167], v[34:35]
	v_add_f64 v[164:165], v[66:67], -v[114:115]
	v_add_f64 v[166:167], v[64:65], -v[112:113]
	v_mul_f64 v[156:157], v[156:157], s[38:39]
	v_mul_f64 v[158:159], v[158:159], s[38:39]
	v_add_f64 v[20:21], v[52:53], v[20:21]
	v_add_f64 v[22:23], v[54:55], v[22:23]
	;; [unrolled: 1-line block ×8, first 2 shown]
	v_fma_f64 v[100:101], v[160:161], s[4:5], v[100:101]
	v_fma_f64 v[102:103], v[162:163], s[4:5], -v[102:103]
	v_add_f64 v[172:173], v[64:65], v[112:113]
	v_add_f64 v[174:175], v[66:67], v[114:115]
	v_mul_f64 v[176:177], v[164:165], s[36:37]
	v_mul_f64 v[179:180], v[166:167], s[36:37]
	v_fma_f64 v[181:182], v[160:161], s[18:19], -v[156:157]
	v_fma_f64 v[183:184], v[162:163], s[18:19], v[158:159]
	v_fma_f64 v[156:157], v[160:161], s[18:19], v[156:157]
	v_fma_f64 v[158:159], v[162:163], s[18:19], -v[158:159]
	v_add_f64 v[40:41], v[100:101], v[40:41]
	v_add_f64 v[42:43], v[102:103], v[42:43]
	v_fma_f64 v[100:101], v[172:173], s[4:5], -v[176:177]
	v_fma_f64 v[102:103], v[174:175], s[4:5], v[179:180]
	v_add_f64 v[168:169], v[52:53], v[168:169]
	v_add_f64 v[170:171], v[54:55], v[170:171]
	;; [unrolled: 1-line block ×4, first 2 shown]
	v_mul_f64 v[156:157], v[164:165], s[0:1]
	v_mul_f64 v[158:159], v[166:167], s[0:1]
	v_add_f64 v[12:13], v[100:101], v[12:13]
	v_add_f64 v[14:15], v[102:103], v[14:15]
	v_fma_f64 v[100:101], v[172:173], s[4:5], v[176:177]
	v_fma_f64 v[102:103], v[174:175], s[4:5], -v[179:180]
	v_add_f64 v[160:161], v[181:182], v[168:169]
	v_add_f64 v[162:163], v[183:184], v[170:171]
	v_fma_f64 v[176:177], v[172:173], s[30:31], -v[156:157]
	v_fma_f64 v[179:180], v[174:175], s[30:31], v[158:159]
	v_fma_f64 v[156:157], v[172:173], s[30:31], v[156:157]
	v_fma_f64 v[158:159], v[174:175], s[30:31], -v[158:159]
	v_mul_f64 v[168:169], v[164:165], s[48:49]
	v_mul_f64 v[170:171], v[166:167], s[48:49]
	v_add_f64 v[16:17], v[100:101], v[16:17]
	v_add_f64 v[18:19], v[102:103], v[18:19]
	v_add_f64 v[76:77], v[176:177], v[76:77]
	v_add_f64 v[78:79], v[179:180], v[78:79]
	v_add_f64 v[4:5], v[156:157], v[4:5]
	v_add_f64 v[6:7], v[158:159], v[6:7]
	v_mul_f64 v[156:157], v[164:165], s[38:39]
	v_mul_f64 v[158:159], v[166:167], s[38:39]
	v_fma_f64 v[100:101], v[172:173], s[20:21], -v[168:169]
	v_fma_f64 v[102:103], v[174:175], s[20:21], v[170:171]
	v_fma_f64 v[168:169], v[172:173], s[20:21], v[168:169]
	v_fma_f64 v[170:171], v[174:175], s[20:21], -v[170:171]
	s_waitcnt lgkmcnt(0)
	s_barrier
	v_fma_f64 v[176:177], v[172:173], s[18:19], -v[156:157]
	v_fma_f64 v[179:180], v[174:175], s[18:19], v[158:159]
	v_fma_f64 v[156:157], v[172:173], s[18:19], v[156:157]
	v_fma_f64 v[158:159], v[174:175], s[18:19], -v[158:159]
	v_add_f64 v[80:81], v[100:101], v[80:81]
	v_add_f64 v[83:84], v[102:103], v[83:84]
	v_mul_f64 v[100:101], v[164:165], s[28:29]
	v_mul_f64 v[102:103], v[166:167], s[28:29]
	v_add_f64 v[32:33], v[168:169], v[32:33]
	v_add_f64 v[34:35], v[170:171], v[34:35]
	;; [unrolled: 1-line block ×4, first 2 shown]
	v_add_f64 v[156:157], v[70:71], -v[110:111]
	v_add_f64 v[158:159], v[68:69], -v[108:109]
	v_fma_f64 v[181:182], v[172:173], s[14:15], -v[100:101]
	v_fma_f64 v[183:184], v[174:175], s[14:15], v[102:103]
	v_add_f64 v[144:145], v[176:177], v[144:145]
	v_add_f64 v[146:147], v[179:180], v[146:147]
	v_fma_f64 v[100:101], v[172:173], s[14:15], v[100:101]
	v_fma_f64 v[102:103], v[174:175], s[14:15], -v[102:103]
	v_add_f64 v[168:169], v[68:69], v[108:109]
	v_add_f64 v[170:171], v[70:71], v[110:111]
	v_mul_f64 v[176:177], v[156:157], s[22:23]
	v_mul_f64 v[179:180], v[158:159], s[22:23]
	;; [unrolled: 1-line block ×4, first 2 shown]
	v_add_f64 v[40:41], v[100:101], v[40:41]
	v_add_f64 v[42:43], v[102:103], v[42:43]
	v_add_f64 v[152:153], v[181:182], v[152:153]
	v_add_f64 v[154:155], v[183:184], v[154:155]
	v_fma_f64 v[100:101], v[168:169], s[20:21], -v[176:177]
	v_fma_f64 v[102:103], v[170:171], s[20:21], v[179:180]
	v_fma_f64 v[181:182], v[172:173], s[24:25], -v[164:165]
	v_fma_f64 v[183:184], v[174:175], s[24:25], v[166:167]
	v_fma_f64 v[164:165], v[172:173], s[24:25], v[164:165]
	v_fma_f64 v[166:167], v[174:175], s[24:25], -v[166:167]
	v_mul_f64 v[172:173], v[156:157], s[38:39]
	v_mul_f64 v[174:175], v[158:159], s[38:39]
	v_add_f64 v[12:13], v[100:101], v[12:13]
	v_add_f64 v[14:15], v[102:103], v[14:15]
	v_fma_f64 v[100:101], v[168:169], s[20:21], v[176:177]
	v_fma_f64 v[102:103], v[170:171], s[20:21], -v[179:180]
	v_add_f64 v[20:21], v[164:165], v[20:21]
	v_add_f64 v[22:23], v[166:167], v[22:23]
	v_mul_f64 v[164:165], v[156:157], s[40:41]
	v_mul_f64 v[166:167], v[158:159], s[40:41]
	v_add_f64 v[160:161], v[181:182], v[160:161]
	v_add_f64 v[162:163], v[183:184], v[162:163]
	;; [unrolled: 1-line block ×4, first 2 shown]
	v_fma_f64 v[100:101], v[168:169], s[18:19], -v[172:173]
	v_fma_f64 v[102:103], v[170:171], s[18:19], v[174:175]
	v_fma_f64 v[176:177], v[168:169], s[24:25], -v[164:165]
	v_fma_f64 v[179:180], v[170:171], s[24:25], v[166:167]
	v_fma_f64 v[164:165], v[168:169], s[24:25], v[164:165]
	v_fma_f64 v[166:167], v[170:171], s[24:25], -v[166:167]
	v_add_f64 v[80:81], v[100:101], v[80:81]
	v_add_f64 v[83:84], v[102:103], v[83:84]
	v_fma_f64 v[100:101], v[168:169], s[18:19], v[172:173]
	v_fma_f64 v[102:103], v[170:171], s[18:19], -v[174:175]
	v_mul_f64 v[172:173], v[156:157], s[44:45]
	v_mul_f64 v[174:175], v[158:159], s[44:45]
	v_add_f64 v[4:5], v[164:165], v[4:5]
	v_add_f64 v[6:7], v[166:167], v[6:7]
	v_mul_f64 v[164:165], v[156:157], s[36:37]
	v_mul_f64 v[166:167], v[158:159], s[36:37]
	v_add_f64 v[32:33], v[100:101], v[32:33]
	v_add_f64 v[34:35], v[102:103], v[34:35]
	v_fma_f64 v[100:101], v[168:169], s[30:31], -v[172:173]
	v_fma_f64 v[102:103], v[170:171], s[30:31], v[174:175]
	v_add_f64 v[76:77], v[176:177], v[76:77]
	v_add_f64 v[78:79], v[179:180], v[78:79]
	v_fma_f64 v[176:177], v[168:169], s[4:5], -v[164:165]
	v_fma_f64 v[179:180], v[170:171], s[4:5], v[166:167]
	v_fma_f64 v[164:165], v[168:169], s[4:5], v[164:165]
	v_fma_f64 v[166:167], v[170:171], s[4:5], -v[166:167]
	v_mul_f64 v[156:157], v[156:157], s[42:43]
	v_mul_f64 v[158:159], v[158:159], s[42:43]
	v_add_f64 v[100:101], v[100:101], v[152:153]
	v_add_f64 v[102:103], v[102:103], v[154:155]
	v_add_f64 v[152:153], v[74:75], -v[106:107]
	v_add_f64 v[154:155], v[72:73], -v[104:105]
	v_add_f64 v[144:145], v[176:177], v[144:145]
	v_add_f64 v[146:147], v[179:180], v[146:147]
	;; [unrolled: 1-line block ×4, first 2 shown]
	v_fma_f64 v[164:165], v[168:169], s[30:31], v[172:173]
	v_fma_f64 v[166:167], v[170:171], s[30:31], -v[174:175]
	v_fma_f64 v[172:173], v[168:169], s[14:15], -v[156:157]
	v_fma_f64 v[174:175], v[170:171], s[14:15], v[158:159]
	v_add_f64 v[176:177], v[72:73], v[104:105]
	v_add_f64 v[179:180], v[74:75], v[106:107]
	v_mul_f64 v[181:182], v[152:153], s[26:27]
	v_mul_f64 v[183:184], v[154:155], s[26:27]
	v_fma_f64 v[156:157], v[168:169], s[14:15], v[156:157]
	v_fma_f64 v[158:159], v[170:171], s[14:15], -v[158:159]
	v_add_f64 v[40:41], v[164:165], v[40:41]
	v_add_f64 v[42:43], v[166:167], v[42:43]
	;; [unrolled: 1-line block ×4, first 2 shown]
	v_fma_f64 v[164:165], v[176:177], s[24:25], -v[181:182]
	v_fma_f64 v[166:167], v[179:180], s[24:25], v[183:184]
	v_add_f64 v[20:21], v[156:157], v[20:21]
	v_add_f64 v[22:23], v[158:159], v[22:23]
	v_mul_f64 v[156:157], v[152:153], s[34:35]
	v_mul_f64 v[158:159], v[154:155], s[34:35]
	v_fma_f64 v[168:169], v[176:177], s[24:25], v[181:182]
	v_fma_f64 v[170:171], v[179:180], s[24:25], -v[183:184]
	v_add_f64 v[12:13], v[164:165], v[12:13]
	v_add_f64 v[14:15], v[166:167], v[14:15]
	v_mul_f64 v[164:165], v[152:153], s[28:29]
	v_mul_f64 v[166:167], v[154:155], s[28:29]
	v_fma_f64 v[172:173], v[176:177], s[4:5], -v[156:157]
	v_fma_f64 v[174:175], v[179:180], s[4:5], v[158:159]
	v_add_f64 v[16:17], v[168:169], v[16:17]
	v_add_f64 v[18:19], v[170:171], v[18:19]
	v_fma_f64 v[156:157], v[176:177], s[4:5], v[156:157]
	v_fma_f64 v[158:159], v[179:180], s[4:5], -v[158:159]
	v_fma_f64 v[168:169], v[176:177], s[14:15], -v[164:165]
	v_fma_f64 v[170:171], v[179:180], s[14:15], v[166:167]
	v_add_f64 v[76:77], v[172:173], v[76:77]
	v_add_f64 v[78:79], v[174:175], v[78:79]
	v_mul_f64 v[172:173], v[152:153], s[44:45]
	v_mul_f64 v[174:175], v[154:155], s[44:45]
	v_add_f64 v[156:157], v[156:157], v[4:5]
	v_add_f64 v[158:159], v[158:159], v[6:7]
	;; [unrolled: 1-line block ×4, first 2 shown]
	v_fma_f64 v[4:5], v[176:177], s[14:15], v[164:165]
	v_fma_f64 v[6:7], v[179:180], s[14:15], -v[166:167]
	v_fma_f64 v[164:165], v[176:177], s[30:31], -v[172:173]
	v_fma_f64 v[166:167], v[179:180], s[30:31], v[174:175]
	v_mul_f64 v[168:169], v[152:153], s[38:39]
	v_mul_f64 v[170:171], v[154:155], s[38:39]
	v_fma_f64 v[172:173], v[176:177], s[30:31], v[172:173]
	v_fma_f64 v[174:175], v[179:180], s[30:31], -v[174:175]
	v_add_f64 v[181:182], v[4:5], v[32:33]
	v_add_f64 v[183:184], v[6:7], v[34:35]
	;; [unrolled: 1-line block ×4, first 2 shown]
	v_fma_f64 v[4:5], v[176:177], s[18:19], -v[168:169]
	v_fma_f64 v[6:7], v[179:180], s[18:19], v[170:171]
	v_fma_f64 v[32:33], v[176:177], s[18:19], v[168:169]
	v_fma_f64 v[34:35], v[179:180], s[18:19], -v[170:171]
	v_mul_f64 v[152:153], v[152:153], s[22:23]
	v_mul_f64 v[154:155], v[154:155], s[22:23]
	v_add_f64 v[164:165], v[90:91], -v[94:95]
	v_add_f64 v[166:167], v[88:89], -v[92:93]
	v_add_f64 v[85:86], v[172:173], v[85:86]
	v_add_f64 v[98:99], v[174:175], v[98:99]
	;; [unrolled: 1-line block ×6, first 2 shown]
	v_fma_f64 v[4:5], v[176:177], s[20:21], -v[152:153]
	v_fma_f64 v[6:7], v[179:180], s[20:21], v[154:155]
	v_add_f64 v[172:173], v[88:89], v[92:93]
	v_add_f64 v[174:175], v[90:91], v[94:95]
	v_mul_f64 v[32:33], v[164:165], s[0:1]
	v_mul_f64 v[34:35], v[166:167], s[0:1]
	v_fma_f64 v[40:41], v[176:177], s[20:21], v[152:153]
	v_fma_f64 v[42:43], v[179:180], s[20:21], -v[154:155]
	v_add_f64 v[152:153], v[4:5], v[160:161]
	v_add_f64 v[154:155], v[6:7], v[162:163]
	v_mul_f64 v[160:161], v[164:165], s[38:39]
	v_mul_f64 v[162:163], v[166:167], s[38:39]
	v_fma_f64 v[4:5], v[172:173], s[30:31], -v[32:33]
	v_fma_f64 v[6:7], v[174:175], s[30:31], v[34:35]
	v_add_f64 v[176:177], v[40:41], v[20:21]
	v_add_f64 v[179:180], v[42:43], v[22:23]
	v_fma_f64 v[20:21], v[172:173], s[30:31], v[32:33]
	v_fma_f64 v[22:23], v[174:175], s[30:31], -v[34:35]
	v_fma_f64 v[32:33], v[172:173], s[18:19], -v[160:161]
	v_fma_f64 v[34:35], v[174:175], s[18:19], v[162:163]
	v_add_f64 v[4:5], v[4:5], v[12:13]
	v_add_f64 v[6:7], v[6:7], v[14:15]
	v_mul_f64 v[12:13], v[164:165], s[26:27]
	v_mul_f64 v[14:15], v[166:167], s[26:27]
	v_add_f64 v[187:188], v[20:21], v[16:17]
	v_add_f64 v[189:190], v[22:23], v[18:19]
	v_fma_f64 v[16:17], v[172:173], s[18:19], v[160:161]
	v_fma_f64 v[18:19], v[174:175], s[18:19], -v[162:163]
	v_mul_f64 v[40:41], v[164:165], s[42:43]
	v_mul_f64 v[42:43], v[166:167], s[42:43]
	v_add_f64 v[20:21], v[32:33], v[76:77]
	v_add_f64 v[22:23], v[34:35], v[78:79]
	v_fma_f64 v[32:33], v[172:173], s[24:25], -v[12:13]
	v_fma_f64 v[34:35], v[174:175], s[24:25], v[14:15]
	v_fma_f64 v[12:13], v[172:173], s[24:25], v[12:13]
	v_fma_f64 v[14:15], v[174:175], s[24:25], -v[14:15]
	v_add_f64 v[160:161], v[16:17], v[156:157]
	v_add_f64 v[162:163], v[18:19], v[158:159]
	v_fma_f64 v[16:17], v[172:173], s[14:15], -v[40:41]
	v_fma_f64 v[18:19], v[174:175], s[14:15], v[42:43]
	v_mul_f64 v[76:77], v[164:165], s[22:23]
	v_mul_f64 v[78:79], v[166:167], s[22:23]
	v_add_f64 v[200:201], v[12:13], v[181:182]
	v_add_f64 v[202:203], v[14:15], v[183:184]
	v_fma_f64 v[12:13], v[172:173], s[14:15], v[40:41]
	v_fma_f64 v[14:15], v[174:175], s[14:15], -v[42:43]
	v_add_f64 v[40:41], v[16:17], v[144:145]
	v_add_f64 v[42:43], v[18:19], v[146:147]
	v_mul_f64 v[16:17], v[164:165], s[34:35]
	v_mul_f64 v[18:19], v[166:167], s[34:35]
	v_add_f64 v[32:33], v[32:33], v[80:81]
	v_add_f64 v[34:35], v[34:35], v[83:84]
	;; [unrolled: 1-line block ×4, first 2 shown]
	v_fma_f64 v[12:13], v[172:173], s[20:21], -v[76:77]
	v_fma_f64 v[14:15], v[174:175], s[20:21], v[78:79]
	v_fma_f64 v[76:77], v[172:173], s[20:21], v[76:77]
	v_fma_f64 v[78:79], v[174:175], s[20:21], -v[78:79]
	v_fma_f64 v[80:81], v[172:173], s[4:5], -v[16:17]
	v_fma_f64 v[83:84], v[174:175], s[4:5], v[18:19]
	v_fma_f64 v[16:17], v[172:173], s[4:5], v[16:17]
	v_fma_f64 v[18:19], v[174:175], s[4:5], -v[18:19]
	v_add_f64 v[144:145], v[12:13], v[100:101]
	v_add_f64 v[146:147], v[14:15], v[102:103]
	;; [unrolled: 1-line block ×8, first 2 shown]
	v_mul_lo_u16_e32 v76, 13, v185
	v_lshl_add_u32 v179, v76, 4, v186
	ds_write_b128 v179, v[8:11]
	ds_write_b128 v179, v[36:39] offset:16
	ds_write_b128 v179, v[44:47] offset:32
	ds_write_b128 v179, v[120:123] offset:48
	ds_write_b128 v179, v[132:135] offset:64
	ds_write_b128 v179, v[128:131] offset:80
	ds_write_b128 v179, v[148:151] offset:96
	ds_write_b128 v179, v[140:143] offset:112
	ds_write_b128 v179, v[136:139] offset:128
	ds_write_b128 v179, v[124:127] offset:144
	ds_write_b128 v179, v[48:51] offset:160
	ds_write_b128 v179, v[28:31] offset:176
	ds_write_b128 v179, v[24:27] offset:192
	v_mul_u32_u24_e32 v8, 13, v82
	buffer_store_dword v8, off, s[52:55], 0 offset:748 ; 4-byte Folded Spill
	s_and_saveexec_b64 s[0:1], vcc
	s_cbranch_execz .LBB0_7
; %bb.6:
	v_add_f64 v[8:9], v[54:55], v[58:59]
	v_add_f64 v[10:11], v[52:53], v[56:57]
	v_mul_u32_u24_e32 v24, 13, v82
	v_lshl_add_u32 v24, v24, 4, v186
	ds_write_b128 v24, v[4:7] offset:16
	ds_write_b128 v24, v[20:23] offset:32
	;; [unrolled: 1-line block ×4, first 2 shown]
	v_add_f64 v[8:9], v[8:9], v[62:63]
	v_add_f64 v[10:11], v[10:11], v[60:61]
	;; [unrolled: 1-line block ×22, first 2 shown]
	ds_write_b128 v24, v[144:147] offset:80
	ds_write_b128 v24, v[12:15] offset:96
	;; [unrolled: 1-line block ×7, first 2 shown]
	ds_write_b128 v24, v[0:3]
	ds_write_b128 v24, v[187:190] offset:192
.LBB0_7:
	s_or_b64 exec, exec, s[0:1]
	s_waitcnt vmcnt(0) lgkmcnt(0)
	s_barrier
	ds_read_b128 v[8:11], v178
	ds_read_b128 v[0:3], v178 offset:1456
	ds_read_b128 v[112:115], v178 offset:3120
	;; [unrolled: 1-line block ×13, first 2 shown]
	v_cmp_gt_u16_e64 s[0:1], 13, v185
	s_and_saveexec_b64 s[4:5], s[0:1]
	s_cbranch_execz .LBB0_9
; %bb.8:
	ds_read_b128 v[4:7], v178 offset:2912
	ds_read_b128 v[20:23], v178 offset:6032
	;; [unrolled: 1-line block ×7, first 2 shown]
.LBB0_9:
	s_or_b64 exec, exec, s[4:5]
	s_movk_i32 s4, 0x4f
	v_mul_lo_u16_sdwa v76, v185, s4 dst_sel:DWORD dst_unused:UNUSED_PAD src0_sel:BYTE_0 src1_sel:DWORD
	v_lshrrev_b16_e32 v84, 10, v76
	v_mul_lo_u16_e32 v76, 13, v84
	v_sub_u16_e32 v85, v185, v76
	v_mov_b32_e32 v83, 6
	v_mul_u32_u24_sdwa v76, v85, v83 dst_sel:DWORD dst_unused:UNUSED_PAD src0_sel:BYTE_0 src1_sel:DWORD
	v_lshlrev_b32_e32 v86, 4, v76
	global_load_dwordx4 v[87:90], v86, s[12:13] offset:48
	global_load_dwordx4 v[91:94], v86, s[12:13] offset:32
	;; [unrolled: 1-line block ×3, first 2 shown]
	global_load_dwordx4 v[102:105], v86, s[12:13]
	s_mov_b32 s14, 0x37e14327
	s_mov_b32 s20, 0xe976ee23
	;; [unrolled: 1-line block ×18, first 2 shown]
	s_waitcnt vmcnt(0) lgkmcnt(11)
	v_mul_f64 v[76:77], v[114:115], v[104:105]
	v_mul_f64 v[78:79], v[112:113], v[104:105]
	v_fma_f64 v[76:77], v[112:113], v[102:103], -v[76:77]
	buffer_store_dword v102, off, s[52:55], 0 offset:268 ; 4-byte Folded Spill
	s_nop 0
	buffer_store_dword v103, off, s[52:55], 0 offset:272 ; 4-byte Folded Spill
	buffer_store_dword v104, off, s[52:55], 0 offset:276 ; 4-byte Folded Spill
	buffer_store_dword v105, off, s[52:55], 0 offset:280 ; 4-byte Folded Spill
	v_fma_f64 v[80:81], v[114:115], v[102:103], v[78:79]
	s_waitcnt lgkmcnt(9)
	v_mul_f64 v[78:79], v[74:75], v[100:101]
	v_fma_f64 v[78:79], v[72:73], v[98:99], -v[78:79]
	v_mul_f64 v[72:73], v[72:73], v[100:101]
	buffer_store_dword v98, off, s[52:55], 0 offset:252 ; 4-byte Folded Spill
	s_nop 0
	buffer_store_dword v99, off, s[52:55], 0 offset:256 ; 4-byte Folded Spill
	buffer_store_dword v100, off, s[52:55], 0 offset:260 ; 4-byte Folded Spill
	buffer_store_dword v101, off, s[52:55], 0 offset:264 ; 4-byte Folded Spill
	v_fma_f64 v[74:75], v[74:75], v[98:99], v[72:73]
	s_waitcnt lgkmcnt(7)
	v_mul_f64 v[72:73], v[70:71], v[93:94]
	v_fma_f64 v[72:73], v[68:69], v[91:92], -v[72:73]
	v_mul_f64 v[68:69], v[68:69], v[93:94]
	;; [unrolled: 10-line block ×3, first 2 shown]
	buffer_store_dword v87, off, s[52:55], 0 offset:220 ; 4-byte Folded Spill
	s_nop 0
	buffer_store_dword v88, off, s[52:55], 0 offset:224 ; 4-byte Folded Spill
	buffer_store_dword v89, off, s[52:55], 0 offset:228 ; 4-byte Folded Spill
	;; [unrolled: 1-line block ×3, first 2 shown]
	v_fma_f64 v[64:65], v[66:67], v[87:88], v[64:65]
	global_load_dwordx4 v[87:90], v86, s[12:13] offset:80
	global_load_dwordx4 v[91:94], v86, s[12:13] offset:64
	s_waitcnt vmcnt(0) lgkmcnt(3)
	v_mul_f64 v[66:67], v[62:63], v[93:94]
	v_fma_f64 v[66:67], v[60:61], v[91:92], -v[66:67]
	v_mul_f64 v[60:61], v[60:61], v[93:94]
	buffer_store_dword v91, off, s[52:55], 0 offset:316 ; 4-byte Folded Spill
	s_nop 0
	buffer_store_dword v92, off, s[52:55], 0 offset:320 ; 4-byte Folded Spill
	buffer_store_dword v93, off, s[52:55], 0 offset:324 ; 4-byte Folded Spill
	;; [unrolled: 1-line block ×3, first 2 shown]
	v_fma_f64 v[60:61], v[62:63], v[91:92], v[60:61]
	s_waitcnt lgkmcnt(1)
	v_mul_f64 v[62:63], v[58:59], v[89:90]
	v_fma_f64 v[62:63], v[56:57], v[87:88], -v[62:63]
	v_mul_f64 v[56:57], v[56:57], v[89:90]
	buffer_store_dword v87, off, s[52:55], 0 offset:284 ; 4-byte Folded Spill
	s_nop 0
	buffer_store_dword v88, off, s[52:55], 0 offset:288 ; 4-byte Folded Spill
	buffer_store_dword v89, off, s[52:55], 0 offset:292 ; 4-byte Folded Spill
	buffer_store_dword v90, off, s[52:55], 0 offset:296 ; 4-byte Folded Spill
	v_fma_f64 v[86:87], v[58:59], v[87:88], v[56:57]
	v_mul_lo_u16_sdwa v56, v82, s4 dst_sel:DWORD dst_unused:UNUSED_PAD src0_sel:BYTE_0 src1_sel:DWORD
	v_lshrrev_b16_e32 v58, 10, v56
	v_mul_lo_u16_e32 v56, 13, v58
	v_sub_u16_e32 v59, v82, v56
	v_mul_u32_u24_sdwa v56, v59, v83 dst_sel:DWORD dst_unused:UNUSED_PAD src0_sel:BYTE_0 src1_sel:DWORD
	v_lshlrev_b32_e32 v83, 4, v56
	global_load_dwordx4 v[88:91], v83, s[12:13] offset:48
	global_load_dwordx4 v[92:95], v83, s[12:13] offset:32
	;; [unrolled: 1-line block ×3, first 2 shown]
	global_load_dwordx4 v[102:105], v83, s[12:13]
	s_movk_i32 s4, 0xb6
	s_waitcnt vmcnt(0)
	v_mul_f64 v[56:57], v[54:55], v[104:105]
	v_fma_f64 v[56:57], v[52:53], v[102:103], -v[56:57]
	v_mul_f64 v[52:53], v[52:53], v[104:105]
	buffer_store_dword v102, off, s[52:55], 0 offset:364 ; 4-byte Folded Spill
	s_nop 0
	buffer_store_dword v103, off, s[52:55], 0 offset:368 ; 4-byte Folded Spill
	buffer_store_dword v104, off, s[52:55], 0 offset:372 ; 4-byte Folded Spill
	buffer_store_dword v105, off, s[52:55], 0 offset:376 ; 4-byte Folded Spill
	v_fma_f64 v[54:55], v[54:55], v[102:103], v[52:53]
	v_mul_f64 v[52:53], v[50:51], v[100:101]
	v_fma_f64 v[52:53], v[48:49], v[98:99], -v[52:53]
	v_mul_f64 v[48:49], v[48:49], v[100:101]
	buffer_store_dword v98, off, s[52:55], 0 offset:348 ; 4-byte Folded Spill
	s_nop 0
	buffer_store_dword v99, off, s[52:55], 0 offset:352 ; 4-byte Folded Spill
	buffer_store_dword v100, off, s[52:55], 0 offset:356 ; 4-byte Folded Spill
	buffer_store_dword v101, off, s[52:55], 0 offset:360 ; 4-byte Folded Spill
	v_fma_f64 v[50:51], v[50:51], v[98:99], v[48:49]
	;; [unrolled: 9-line block ×3, first 2 shown]
	v_mul_f64 v[46:47], v[38:39], v[90:91]
	v_fma_f64 v[46:47], v[36:37], v[88:89], -v[46:47]
	v_mul_f64 v[36:37], v[36:37], v[90:91]
	buffer_store_dword v88, off, s[52:55], 0 offset:300 ; 4-byte Folded Spill
	s_nop 0
	buffer_store_dword v89, off, s[52:55], 0 offset:304 ; 4-byte Folded Spill
	buffer_store_dword v90, off, s[52:55], 0 offset:308 ; 4-byte Folded Spill
	;; [unrolled: 1-line block ×3, first 2 shown]
	global_load_dwordx4 v[98:101], v83, s[12:13] offset:80
	s_nop 0
	global_load_dwordx4 v[90:93], v83, s[12:13] offset:64
	v_add_co_u32_e64 v83, s[4:5], s4, v185
	s_movk_i32 s4, 0x4ec5
	v_fma_f64 v[36:37], v[38:39], v[88:89], v[36:37]
	s_waitcnt vmcnt(0)
	v_mul_f64 v[38:39], v[30:31], v[92:93]
	v_fma_f64 v[88:89], v[28:29], v[90:91], -v[38:39]
	v_mul_f64 v[28:29], v[28:29], v[92:93]
	buffer_store_dword v90, off, s[52:55], 0 offset:396 ; 4-byte Folded Spill
	s_nop 0
	buffer_store_dword v91, off, s[52:55], 0 offset:400 ; 4-byte Folded Spill
	buffer_store_dword v92, off, s[52:55], 0 offset:404 ; 4-byte Folded Spill
	;; [unrolled: 1-line block ×3, first 2 shown]
	v_fma_f64 v[90:91], v[30:31], v[90:91], v[28:29]
	s_waitcnt lgkmcnt(0)
	v_mul_f64 v[28:29], v[26:27], v[100:101]
	v_fma_f64 v[92:93], v[24:25], v[98:99], -v[28:29]
	v_mul_f64 v[24:25], v[24:25], v[100:101]
	buffer_store_dword v98, off, s[52:55], 0 offset:380 ; 4-byte Folded Spill
	s_nop 0
	buffer_store_dword v99, off, s[52:55], 0 offset:384 ; 4-byte Folded Spill
	buffer_store_dword v100, off, s[52:55], 0 offset:388 ; 4-byte Folded Spill
	;; [unrolled: 1-line block ×3, first 2 shown]
	v_fma_f64 v[94:95], v[26:27], v[98:99], v[24:25]
	v_mul_u32_u24_sdwa v24, v83, s4 dst_sel:DWORD dst_unused:UNUSED_PAD src0_sel:WORD_0 src1_sel:DWORD
	v_lshrrev_b32_e32 v24, 18, v24
	v_mul_lo_u16_e32 v24, 13, v24
	v_sub_u16_e32 v38, v83, v24
	v_mul_lo_u16_e32 v24, 6, v38
	v_lshlrev_b32_e32 v39, 4, v24
	global_load_dwordx4 v[98:101], v39, s[12:13] offset:48
	global_load_dwordx4 v[102:105], v39, s[12:13] offset:32
	;; [unrolled: 1-line block ×3, first 2 shown]
	global_load_dwordx4 v[106:109], v39, s[12:13]
	s_mov_b32 s4, 0x36b3c0b5
	s_mov_b32 s5, 0x3fac98ee
	s_waitcnt vmcnt(0)
	v_mul_f64 v[24:25], v[22:23], v[108:109]
	v_fma_f64 v[24:25], v[20:21], v[106:107], -v[24:25]
	v_mul_f64 v[20:21], v[20:21], v[108:109]
	buffer_store_dword v106, off, s[52:55], 0 offset:700 ; 4-byte Folded Spill
	s_nop 0
	buffer_store_dword v107, off, s[52:55], 0 offset:704 ; 4-byte Folded Spill
	buffer_store_dword v108, off, s[52:55], 0 offset:708 ; 4-byte Folded Spill
	;; [unrolled: 1-line block ×3, first 2 shown]
	v_fma_f64 v[26:27], v[22:23], v[106:107], v[20:21]
	v_mul_f64 v[20:21], v[34:35], v[30:31]
	v_mul_f64 v[22:23], v[32:33], v[30:31]
	v_fma_f64 v[20:21], v[32:33], v[28:29], -v[20:21]
	buffer_store_dword v28, off, s[52:55], 0 offset:684 ; 4-byte Folded Spill
	s_nop 0
	buffer_store_dword v29, off, s[52:55], 0 offset:688 ; 4-byte Folded Spill
	buffer_store_dword v30, off, s[52:55], 0 offset:692 ; 4-byte Folded Spill
	;; [unrolled: 1-line block ×3, first 2 shown]
	v_mul_f64 v[30:31], v[40:41], v[104:105]
	v_mul_f64 v[32:33], v[146:147], v[100:101]
	v_fma_f64 v[32:33], v[144:145], v[98:99], -v[32:33]
	v_fma_f64 v[28:29], v[34:35], v[28:29], v[22:23]
	v_mul_f64 v[22:23], v[42:43], v[104:105]
	v_mul_f64 v[34:35], v[144:145], v[100:101]
	v_fma_f64 v[22:23], v[40:41], v[102:103], -v[22:23]
	buffer_store_dword v102, off, s[52:55], 0 offset:668 ; 4-byte Folded Spill
	s_nop 0
	buffer_store_dword v103, off, s[52:55], 0 offset:672 ; 4-byte Folded Spill
	buffer_store_dword v104, off, s[52:55], 0 offset:676 ; 4-byte Folded Spill
	;; [unrolled: 1-line block ×4, first 2 shown]
	s_nop 0
	buffer_store_dword v99, off, s[52:55], 0 offset:656 ; 4-byte Folded Spill
	buffer_store_dword v100, off, s[52:55], 0 offset:660 ; 4-byte Folded Spill
	;; [unrolled: 1-line block ×3, first 2 shown]
	v_fma_f64 v[30:31], v[42:43], v[102:103], v[30:31]
	global_load_dwordx4 v[104:107], v39, s[12:13] offset:80
	global_load_dwordx4 v[100:103], v39, s[12:13] offset:64
	v_fma_f64 v[34:35], v[146:147], v[98:99], v[34:35]
	v_add_f64 v[41:42], v[74:75], v[60:61]
	v_add_f64 v[60:61], v[74:75], -v[60:61]
	v_add_f64 v[74:75], v[68:69], v[64:65]
	v_add_f64 v[64:65], v[64:65], -v[68:69]
	v_add_f64 v[108:109], v[64:65], -v[60:61]
	s_waitcnt vmcnt(0)
	v_mul_f64 v[39:40], v[14:15], v[102:103]
	v_fma_f64 v[98:99], v[12:13], v[100:101], -v[39:40]
	v_mul_f64 v[12:13], v[12:13], v[102:103]
	buffer_store_dword v100, off, s[52:55], 0 offset:732 ; 4-byte Folded Spill
	s_nop 0
	buffer_store_dword v101, off, s[52:55], 0 offset:736 ; 4-byte Folded Spill
	buffer_store_dword v102, off, s[52:55], 0 offset:740 ; 4-byte Folded Spill
	;; [unrolled: 1-line block ×3, first 2 shown]
	v_add_f64 v[39:40], v[78:79], v[66:67]
	v_fma_f64 v[100:101], v[14:15], v[100:101], v[12:13]
	v_mul_f64 v[12:13], v[18:19], v[106:107]
	v_add_f64 v[14:15], v[80:81], v[86:87]
	v_fma_f64 v[102:103], v[16:17], v[104:105], -v[12:13]
	v_mul_f64 v[12:13], v[16:17], v[106:107]
	buffer_store_dword v104, off, s[52:55], 0 offset:716 ; 4-byte Folded Spill
	s_nop 0
	buffer_store_dword v105, off, s[52:55], 0 offset:720 ; 4-byte Folded Spill
	buffer_store_dword v106, off, s[52:55], 0 offset:724 ; 4-byte Folded Spill
	;; [unrolled: 1-line block ×3, first 2 shown]
	v_add_f64 v[16:17], v[76:77], -v[62:63]
	s_waitcnt vmcnt(0)
	s_barrier
	v_fma_f64 v[104:105], v[18:19], v[104:105], v[12:13]
	v_add_f64 v[12:13], v[76:77], v[62:63]
	v_add_f64 v[18:19], v[80:81], -v[86:87]
	v_add_f64 v[62:63], v[78:79], -v[66:67]
	v_add_f64 v[66:67], v[72:73], v[70:71]
	v_add_f64 v[70:71], v[70:71], -v[72:73]
	v_add_f64 v[72:73], v[41:42], v[14:15]
	v_add_f64 v[78:79], v[41:42], -v[14:15]
	v_add_f64 v[14:15], v[14:15], -v[74:75]
	v_add_f64 v[68:69], v[39:40], v[12:13]
	v_add_f64 v[76:77], v[39:40], -v[12:13]
	v_add_f64 v[41:42], v[74:75], -v[41:42]
	;; [unrolled: 1-line block ×4, first 2 shown]
	v_add_f64 v[80:81], v[70:71], v[62:63]
	v_add_f64 v[86:87], v[64:65], v[60:61]
	v_add_f64 v[106:107], v[70:71], -v[62:63]
	v_add_f64 v[62:63], v[62:63], -v[16:17]
	v_add_f64 v[60:61], v[60:61], -v[18:19]
	v_add_f64 v[66:67], v[66:67], v[68:69]
	v_add_f64 v[68:69], v[74:75], v[72:73]
	v_add_f64 v[70:71], v[16:17], -v[70:71]
	v_add_f64 v[64:65], v[18:19], -v[64:65]
	v_add_f64 v[16:17], v[80:81], v[16:17]
	v_add_f64 v[18:19], v[86:87], v[18:19]
	v_mul_f64 v[12:13], v[12:13], s[14:15]
	v_mul_f64 v[14:15], v[14:15], s[14:15]
	v_add_f64 v[8:9], v[8:9], v[66:67]
	v_add_f64 v[10:11], v[10:11], v[68:69]
	v_mul_f64 v[72:73], v[39:40], s[4:5]
	v_mul_f64 v[74:75], v[41:42], s[4:5]
	;; [unrolled: 1-line block ×6, first 2 shown]
	v_fma_f64 v[66:67], v[66:67], s[22:23], v[8:9]
	v_fma_f64 v[68:69], v[68:69], s[22:23], v[10:11]
	;; [unrolled: 1-line block ×4, first 2 shown]
	v_fma_f64 v[72:73], v[76:77], s[24:25], -v[72:73]
	v_fma_f64 v[74:75], v[78:79], s[24:25], -v[74:75]
	;; [unrolled: 1-line block ×4, first 2 shown]
	v_fma_f64 v[76:77], v[70:71], s[30:31], v[80:81]
	v_fma_f64 v[78:79], v[64:65], s[30:31], v[86:87]
	v_fma_f64 v[62:63], v[62:63], s[18:19], -v[80:81]
	v_fma_f64 v[60:61], v[60:61], s[18:19], -v[86:87]
	;; [unrolled: 1-line block ×4, first 2 shown]
	v_add_f64 v[80:81], v[39:40], v[66:67]
	v_add_f64 v[86:87], v[41:42], v[68:69]
	;; [unrolled: 1-line block ×6, first 2 shown]
	v_fma_f64 v[76:77], v[16:17], s[26:27], v[76:77]
	v_fma_f64 v[78:79], v[18:19], s[26:27], v[78:79]
	;; [unrolled: 1-line block ×6, first 2 shown]
	v_add_f64 v[14:15], v[86:87], -v[76:77]
	v_add_f64 v[12:13], v[78:79], v[80:81]
	v_add_f64 v[41:42], v[62:63], v[74:75]
	v_add_f64 v[39:40], v[72:73], -v[60:61]
	v_add_f64 v[18:19], v[68:69], -v[70:71]
	v_add_f64 v[16:17], v[64:65], v[66:67]
	v_add_f64 v[60:61], v[60:61], v[72:73]
	v_add_f64 v[62:63], v[74:75], -v[62:63]
	v_add_f64 v[64:65], v[66:67], -v[64:65]
	v_add_f64 v[66:67], v[70:71], v[68:69]
	v_add_f64 v[68:69], v[80:81], -v[78:79]
	v_add_f64 v[70:71], v[76:77], v[86:87]
	v_add_f64 v[72:73], v[56:57], v[92:93]
	v_add_f64 v[74:75], v[54:55], v[94:95]
	v_add_f64 v[76:77], v[52:53], v[88:89]
	v_add_f64 v[78:79], v[50:51], v[90:91]
	v_add_f64 v[56:57], v[56:57], -v[92:93]
	v_add_f64 v[54:55], v[54:55], -v[94:95]
	;; [unrolled: 1-line block ×4, first 2 shown]
	v_add_f64 v[80:81], v[48:49], v[46:47]
	v_add_f64 v[86:87], v[44:45], v[36:37]
	v_add_f64 v[46:47], v[46:47], -v[48:49]
	v_add_f64 v[36:37], v[36:37], -v[44:45]
	v_add_f64 v[43:44], v[76:77], v[72:73]
	v_add_f64 v[48:49], v[78:79], v[74:75]
	v_add_f64 v[88:89], v[76:77], -v[72:73]
	v_add_f64 v[90:91], v[78:79], -v[74:75]
	;; [unrolled: 1-line block ×6, first 2 shown]
	v_add_f64 v[92:93], v[46:47], v[52:53]
	v_add_f64 v[94:95], v[36:37], v[50:51]
	v_add_f64 v[106:107], v[46:47], -v[52:53]
	v_add_f64 v[108:109], v[36:37], -v[50:51]
	;; [unrolled: 1-line block ×5, first 2 shown]
	v_add_f64 v[80:81], v[80:81], v[43:44]
	v_add_f64 v[47:48], v[86:87], v[48:49]
	v_add_f64 v[36:37], v[54:55], -v[36:37]
	v_add_f64 v[56:57], v[92:93], v[56:57]
	v_add_f64 v[54:55], v[94:95], v[54:55]
	v_mul_f64 v[86:87], v[106:107], s[20:21]
	v_mul_f64 v[92:93], v[108:109], s[20:21]
	;; [unrolled: 1-line block ×3, first 2 shown]
	v_add_f64 v[43:44], v[0:1], v[80:81]
	v_add_f64 v[45:46], v[2:3], v[47:48]
	v_mul_f64 v[0:1], v[72:73], s[14:15]
	v_mul_f64 v[2:3], v[74:75], s[14:15]
	;; [unrolled: 1-line block ×5, first 2 shown]
	v_fma_f64 v[52:53], v[52:53], s[18:19], -v[86:87]
	v_fma_f64 v[80:81], v[80:81], s[22:23], v[43:44]
	v_fma_f64 v[47:48], v[47:48], s[22:23], v[45:46]
	;; [unrolled: 1-line block ×4, first 2 shown]
	v_fma_f64 v[72:73], v[88:89], s[24:25], -v[72:73]
	v_fma_f64 v[74:75], v[90:91], s[24:25], -v[74:75]
	;; [unrolled: 1-line block ×4, first 2 shown]
	v_fma_f64 v[88:89], v[110:111], s[30:31], v[86:87]
	v_fma_f64 v[90:91], v[36:37], s[30:31], v[92:93]
	v_fma_f64 v[86:87], v[110:111], s[34:35], -v[94:95]
	v_fma_f64 v[36:37], v[36:37], s[34:35], -v[106:107]
	;; [unrolled: 1-line block ×3, first 2 shown]
	v_add_f64 v[92:93], v[76:77], v[80:81]
	v_add_f64 v[94:95], v[78:79], v[47:48]
	;; [unrolled: 1-line block ×6, first 2 shown]
	v_fma_f64 v[80:81], v[56:57], s[26:27], v[88:89]
	v_fma_f64 v[88:89], v[56:57], s[26:27], v[52:53]
	;; [unrolled: 1-line block ×6, first 2 shown]
	v_add_f64 v[49:50], v[94:95], -v[80:81]
	v_add_f64 v[74:75], v[88:89], v[78:79]
	v_add_f64 v[53:54], v[2:3], -v[56:57]
	v_add_f64 v[51:52], v[36:37], v[0:1]
	v_add_f64 v[78:79], v[78:79], -v[88:89]
	v_add_f64 v[86:87], v[0:1], -v[36:37]
	v_add_f64 v[88:89], v[56:57], v[2:3]
	v_add_f64 v[0:1], v[24:25], v[102:103]
	;; [unrolled: 1-line block ×6, first 2 shown]
	v_add_f64 v[90:91], v[92:93], -v[90:91]
	v_add_f64 v[92:93], v[80:81], v[94:95]
	v_add_f64 v[24:25], v[24:25], -v[102:103]
	v_add_f64 v[26:27], v[26:27], -v[104:105]
	;; [unrolled: 1-line block ×4, first 2 shown]
	v_add_f64 v[80:81], v[22:23], v[32:33]
	v_add_f64 v[94:95], v[30:31], v[34:35]
	v_add_f64 v[22:23], v[32:33], -v[22:23]
	v_add_f64 v[30:31], v[34:35], -v[30:31]
	v_add_f64 v[32:33], v[36:37], v[0:1]
	v_add_f64 v[34:35], v[55:56], v[2:3]
	v_add_f64 v[72:73], v[76:77], -v[106:107]
	v_add_f64 v[76:77], v[106:107], v[76:77]
	v_add_f64 v[98:99], v[36:37], -v[0:1]
	v_add_f64 v[100:101], v[55:56], -v[2:3]
	;; [unrolled: 1-line block ×6, first 2 shown]
	v_add_f64 v[0:1], v[22:23], v[20:21]
	v_add_f64 v[2:3], v[30:31], v[28:29]
	v_add_f64 v[106:107], v[22:23], -v[20:21]
	v_add_f64 v[108:109], v[30:31], -v[28:29]
	;; [unrolled: 1-line block ×4, first 2 shown]
	v_add_f64 v[32:33], v[80:81], v[32:33]
	v_add_f64 v[34:35], v[94:95], v[34:35]
	v_add_f64 v[22:23], v[24:25], -v[22:23]
	v_add_f64 v[30:31], v[26:27], -v[30:31]
	v_add_f64 v[24:25], v[0:1], v[24:25]
	v_add_f64 v[26:27], v[2:3], v[26:27]
	v_mul_f64 v[80:81], v[36:37], s[4:5]
	v_mul_f64 v[94:95], v[55:56], s[4:5]
	v_add_f64 v[0:1], v[4:5], v[32:33]
	v_add_f64 v[2:3], v[6:7], v[34:35]
	v_mul_f64 v[4:5], v[102:103], s[14:15]
	v_mul_f64 v[6:7], v[104:105], s[14:15]
	;; [unrolled: 1-line block ×6, first 2 shown]
	v_fma_f64 v[32:33], v[32:33], s[22:23], v[0:1]
	v_fma_f64 v[34:35], v[34:35], s[22:23], v[2:3]
	;; [unrolled: 1-line block ×4, first 2 shown]
	v_fma_f64 v[80:81], v[98:99], s[24:25], -v[80:81]
	v_fma_f64 v[94:95], v[100:101], s[24:25], -v[94:95]
	;; [unrolled: 1-line block ×4, first 2 shown]
	v_fma_f64 v[98:99], v[22:23], s[30:31], v[102:103]
	v_fma_f64 v[100:101], v[30:31], s[30:31], v[104:105]
	v_fma_f64 v[20:21], v[20:21], s[18:19], -v[102:103]
	v_fma_f64 v[28:29], v[28:29], s[18:19], -v[104:105]
	v_fma_f64 v[22:23], v[22:23], s[34:35], -v[106:107]
	v_fma_f64 v[30:31], v[30:31], s[34:35], -v[108:109]
	v_add_f64 v[36:37], v[36:37], v[32:33]
	v_add_f64 v[55:56], v[55:56], v[34:35]
	;; [unrolled: 1-line block ×6, first 2 shown]
	v_fma_f64 v[32:33], v[24:25], s[26:27], v[98:99]
	v_fma_f64 v[34:35], v[26:27], s[26:27], v[100:101]
	;; [unrolled: 1-line block ×6, first 2 shown]
	v_add_f64 v[218:219], v[55:56], -v[32:33]
	v_add_f64 v[216:217], v[34:35], v[36:37]
	v_add_f64 v[226:227], v[20:21], v[94:95]
	v_add_f64 v[224:225], v[80:81], -v[28:29]
	v_add_f64 v[222:223], v[6:7], -v[22:23]
	v_add_f64 v[220:221], v[24:25], v[4:5]
	v_add_f64 v[228:229], v[28:29], v[80:81]
	v_add_f64 v[230:231], v[94:95], -v[20:21]
	v_add_f64 v[232:233], v[4:5], -v[24:25]
	v_add_f64 v[234:235], v[22:23], v[6:7]
	v_add_f64 v[236:237], v[36:37], -v[34:35]
	v_add_f64 v[238:239], v[32:33], v[55:56]
	v_mul_u32_u24_e32 v4, 0x5b, v84
	v_add_u32_sdwa v4, v4, v85 dst_sel:DWORD dst_unused:UNUSED_PAD src0_sel:DWORD src1_sel:BYTE_0
	v_lshl_add_u32 v4, v4, 4, v186
	ds_write_b128 v4, v[8:11]
	ds_write_b128 v4, v[12:15] offset:208
	ds_write_b128 v4, v[16:19] offset:416
	;; [unrolled: 1-line block ×5, first 2 shown]
	buffer_store_dword v4, off, s[52:55], 0 offset:464 ; 4-byte Folded Spill
	ds_write_b128 v4, v[68:71] offset:1248
	v_mul_u32_u24_e32 v4, 0x5b, v58
	v_add_u32_sdwa v4, v4, v59 dst_sel:DWORD dst_unused:UNUSED_PAD src0_sel:DWORD src1_sel:BYTE_0
	v_lshl_add_u32 v4, v4, 4, v186
	ds_write_b128 v4, v[43:46]
	ds_write_b128 v4, v[47:50] offset:208
	ds_write_b128 v4, v[51:54] offset:416
	;; [unrolled: 1-line block ×5, first 2 shown]
	buffer_store_dword v4, off, s[52:55], 0 offset:484 ; 4-byte Folded Spill
	ds_write_b128 v4, v[90:93] offset:1248
	v_lshl_add_u32 v4, v38, 4, v186
	buffer_store_dword v4, off, s[52:55], 0 offset:412 ; 4-byte Folded Spill
	s_and_saveexec_b64 s[4:5], s[0:1]
	s_cbranch_execz .LBB0_11
; %bb.10:
	buffer_load_dword v4, off, s[52:55], 0 offset:412 ; 4-byte Folded Reload
	s_waitcnt vmcnt(0)
	ds_write_b128 v4, v[0:3] offset:20384
	ds_write_b128 v4, v[216:219] offset:20592
	;; [unrolled: 1-line block ×7, first 2 shown]
.LBB0_11:
	s_or_b64 exec, exec, s[4:5]
	v_mov_b32_e32 v0, s17
	v_lshlrev_b32_e32 v12, 6, v185
	v_addc_co_u32_e64 v72, s[2:3], 0, v0, s[2:3]
	s_waitcnt vmcnt(0) lgkmcnt(0)
	s_barrier
	ds_read_b128 v[18:21], v178
	ds_read_b128 v[8:11], v178 offset:4368
	ds_read_b128 v[26:29], v178 offset:8736
	;; [unrolled: 1-line block ×14, first 2 shown]
	global_load_dwordx4 v[144:147], v12, s[12:13] offset:1296
	global_load_dwordx4 v[148:151], v12, s[12:13] offset:1280
	;; [unrolled: 1-line block ×4, first 2 shown]
	v_add_co_u32_e64 v75, s[2:3], s12, v12
	v_mov_b32_e32 v74, s13
	v_addc_co_u32_e64 v76, s[2:3], 0, v74, s[2:3]
	s_movk_i32 s2, 0x6817
	s_mov_b32 s14, 0x134454ff
	s_mov_b32 s15, 0x3fee6f0e
	;; [unrolled: 1-line block ×8, first 2 shown]
	v_lshlrev_b32_e32 v73, 5, v185
	s_movk_i32 s13, 0x1000
	v_lshl_add_u32 v180, v185, 4, v186
	s_waitcnt vmcnt(0) lgkmcnt(13)
	v_mul_f64 v[12:13], v[10:11], v[158:159]
	v_fma_f64 v[38:39], v[8:9], v[156:157], -v[12:13]
	v_mul_f64 v[8:9], v[8:9], v[158:159]
	v_fma_f64 v[24:25], v[10:11], v[156:157], v[8:9]
	s_waitcnt lgkmcnt(12)
	v_mul_f64 v[8:9], v[28:29], v[154:155]
	v_fma_f64 v[14:15], v[26:27], v[152:153], -v[8:9]
	v_mul_f64 v[8:9], v[26:27], v[154:155]
	v_add_f64 v[16:17], v[38:39], -v[14:15]
	v_fma_f64 v[28:29], v[28:29], v[152:153], v[8:9]
	s_waitcnt lgkmcnt(11)
	v_mul_f64 v[8:9], v[32:33], v[150:151]
	v_fma_f64 v[34:35], v[30:31], v[148:149], -v[8:9]
	v_mul_f64 v[8:9], v[30:31], v[150:151]
	v_fma_f64 v[30:31], v[32:33], v[148:149], v[8:9]
	s_waitcnt lgkmcnt(10)
	v_mul_f64 v[8:9], v[42:43], v[146:147]
	v_fma_f64 v[70:71], v[40:41], v[144:145], -v[8:9]
	v_mul_f64 v[8:9], v[40:41], v[146:147]
	v_add_f64 v[26:27], v[70:71], -v[34:35]
	v_fma_f64 v[32:33], v[42:43], v[144:145], v[8:9]
	s_waitcnt lgkmcnt(8)
	v_mul_f64 v[8:9], v[46:47], v[158:159]
	v_add_f64 v[16:17], v[16:17], v[26:27]
	v_add_f64 v[22:23], v[24:25], -v[32:33]
	v_fma_f64 v[36:37], v[44:45], v[156:157], -v[8:9]
	v_mul_f64 v[8:9], v[44:45], v[158:159]
	v_add_f64 v[26:27], v[14:15], -v[38:39]
	v_fma_f64 v[58:59], v[46:47], v[156:157], v[8:9]
	s_waitcnt lgkmcnt(7)
	v_mul_f64 v[8:9], v[50:51], v[154:155]
	v_fma_f64 v[40:41], v[48:49], v[152:153], -v[8:9]
	v_mul_f64 v[8:9], v[48:49], v[154:155]
	v_fma_f64 v[60:61], v[50:51], v[152:153], v[8:9]
	s_waitcnt lgkmcnt(6)
	v_mul_f64 v[8:9], v[54:55], v[150:151]
	v_fma_f64 v[66:67], v[52:53], v[148:149], -v[8:9]
	v_mul_f64 v[8:9], v[52:53], v[150:151]
	;; [unrolled: 5-line block ×3, first 2 shown]
	v_fma_f64 v[64:65], v[79:80], v[144:145], v[8:9]
	v_mul_u32_u24_sdwa v8, v83, s2 dst_sel:DWORD dst_unused:UNUSED_PAD src0_sel:WORD_0 src1_sel:DWORD
	v_sub_u16_sdwa v9, v83, v8 dst_sel:DWORD dst_unused:UNUSED_PAD src0_sel:DWORD src1_sel:WORD_1
	v_lshrrev_b16_e32 v9, 1, v9
	v_add_u16_sdwa v8, v9, v8 dst_sel:DWORD dst_unused:UNUSED_PAD src0_sel:DWORD src1_sel:WORD_1
	v_lshrrev_b16_e32 v8, 6, v8
	v_mul_lo_u16_e32 v8, 0x5b, v8
	v_sub_u16_e32 v77, v83, v8
	v_lshlrev_b16_e32 v8, 6, v77
	v_add_co_u32_e64 v8, s[2:3], s12, v8
	v_addc_co_u32_e64 v9, s[2:3], 0, v74, s[2:3]
	global_load_dwordx4 v[10:13], v[8:9], off offset:1296
	global_load_dwordx4 v[46:49], v[8:9], off offset:1280
	;; [unrolled: 1-line block ×4, first 2 shown]
	v_add_f64 v[78:79], v[28:29], -v[30:31]
	s_mov_b32 s2, 0x372fe950
	s_mov_b32 s3, 0x3fd3c6ef
	v_add_f64 v[80:81], v[34:35], -v[70:71]
	v_lshl_add_u32 v181, v77, 4, v186
	v_add_f64 v[80:81], v[26:27], v[80:81]
	s_waitcnt vmcnt(0) lgkmcnt(3)
	v_mul_f64 v[8:9], v[86:87], v[44:45]
	v_fma_f64 v[50:51], v[84:85], v[42:43], -v[8:9]
	v_mul_f64 v[8:9], v[84:85], v[44:45]
	buffer_store_dword v42, off, s[52:55], 0 offset:468 ; 4-byte Folded Spill
	s_nop 0
	buffer_store_dword v43, off, s[52:55], 0 offset:472 ; 4-byte Folded Spill
	buffer_store_dword v44, off, s[52:55], 0 offset:476 ; 4-byte Folded Spill
	buffer_store_dword v45, off, s[52:55], 0 offset:480 ; 4-byte Folded Spill
	v_fma_f64 v[42:43], v[86:87], v[42:43], v[8:9]
	s_waitcnt lgkmcnt(2)
	v_mul_f64 v[8:9], v[90:91], v[56:57]
	v_fma_f64 v[52:53], v[88:89], v[54:55], -v[8:9]
	v_mul_f64 v[8:9], v[88:89], v[56:57]
	buffer_store_dword v54, off, s[52:55], 0 offset:448 ; 4-byte Folded Spill
	s_nop 0
	buffer_store_dword v55, off, s[52:55], 0 offset:452 ; 4-byte Folded Spill
	buffer_store_dword v56, off, s[52:55], 0 offset:456 ; 4-byte Folded Spill
	buffer_store_dword v57, off, s[52:55], 0 offset:460 ; 4-byte Folded Spill
	v_fma_f64 v[44:45], v[90:91], v[54:55], v[8:9]
	s_waitcnt lgkmcnt(1)
	v_mul_f64 v[8:9], v[94:95], v[48:49]
	v_fma_f64 v[54:55], v[92:93], v[46:47], -v[8:9]
	v_mul_f64 v[8:9], v[92:93], v[48:49]
	buffer_store_dword v46, off, s[52:55], 0 offset:432 ; 4-byte Folded Spill
	s_nop 0
	buffer_store_dword v47, off, s[52:55], 0 offset:436 ; 4-byte Folded Spill
	buffer_store_dword v48, off, s[52:55], 0 offset:440 ; 4-byte Folded Spill
	buffer_store_dword v49, off, s[52:55], 0 offset:444 ; 4-byte Folded Spill
	v_fma_f64 v[46:47], v[94:95], v[46:47], v[8:9]
	s_waitcnt lgkmcnt(0)
	v_mul_f64 v[8:9], v[100:101], v[12:13]
	v_fma_f64 v[56:57], v[98:99], v[10:11], -v[8:9]
	v_mul_f64 v[8:9], v[98:99], v[12:13]
	buffer_store_dword v10, off, s[52:55], 0 offset:416 ; 4-byte Folded Spill
	s_nop 0
	buffer_store_dword v11, off, s[52:55], 0 offset:420 ; 4-byte Folded Spill
	buffer_store_dword v12, off, s[52:55], 0 offset:424 ; 4-byte Folded Spill
	;; [unrolled: 1-line block ×3, first 2 shown]
	s_waitcnt vmcnt(0)
	s_barrier
	v_fma_f64 v[48:49], v[100:101], v[10:11], v[8:9]
	v_add_f64 v[10:11], v[14:15], v[34:35]
	v_add_f64 v[8:9], v[18:19], v[38:39]
	v_fma_f64 v[10:11], v[10:11], -0.5, v[18:19]
	v_add_f64 v[8:9], v[8:9], v[14:15]
	v_fma_f64 v[12:13], v[22:23], s[14:15], v[10:11]
	v_fma_f64 v[10:11], v[22:23], s[16:17], v[10:11]
	v_add_f64 v[8:9], v[8:9], v[34:35]
	v_add_f64 v[34:35], v[14:15], -v[34:35]
	v_fma_f64 v[12:13], v[78:79], s[4:5], v[12:13]
	v_fma_f64 v[10:11], v[78:79], s[18:19], v[10:11]
	v_add_f64 v[8:9], v[8:9], v[70:71]
	v_fma_f64 v[12:13], v[16:17], s[2:3], v[12:13]
	v_fma_f64 v[16:17], v[16:17], s[2:3], v[10:11]
	v_add_f64 v[10:11], v[38:39], v[70:71]
	v_add_f64 v[38:39], v[38:39], -v[70:71]
	v_fma_f64 v[10:11], v[10:11], -0.5, v[18:19]
	v_fma_f64 v[18:19], v[78:79], s[16:17], v[10:11]
	v_fma_f64 v[10:11], v[78:79], s[14:15], v[10:11]
	v_add_f64 v[78:79], v[32:33], -v[30:31]
	v_fma_f64 v[18:19], v[22:23], s[4:5], v[18:19]
	v_fma_f64 v[10:11], v[22:23], s[18:19], v[10:11]
	;; [unrolled: 1-line block ×3, first 2 shown]
	v_add_f64 v[18:19], v[28:29], v[30:31]
	v_fma_f64 v[22:23], v[80:81], s[2:3], v[10:11]
	v_add_f64 v[10:11], v[20:21], v[24:25]
	v_add_f64 v[80:81], v[66:67], -v[68:69]
	v_fma_f64 v[18:19], v[18:19], -0.5, v[20:21]
	v_add_f64 v[10:11], v[10:11], v[28:29]
	v_fma_f64 v[70:71], v[38:39], s[16:17], v[18:19]
	v_fma_f64 v[18:19], v[38:39], s[14:15], v[18:19]
	v_add_f64 v[10:11], v[10:11], v[30:31]
	v_fma_f64 v[14:15], v[34:35], s[18:19], v[70:71]
	v_add_f64 v[70:71], v[24:25], -v[28:29]
	v_fma_f64 v[18:19], v[34:35], s[4:5], v[18:19]
	v_add_f64 v[10:11], v[10:11], v[32:33]
	v_add_f64 v[70:71], v[70:71], v[78:79]
	v_add_f64 v[78:79], v[68:69], -v[66:67]
	v_fma_f64 v[14:15], v[70:71], s[2:3], v[14:15]
	v_fma_f64 v[18:19], v[70:71], s[2:3], v[18:19]
	v_add_f64 v[70:71], v[24:25], v[32:33]
	v_add_f64 v[24:25], v[28:29], -v[24:25]
	v_add_f64 v[28:29], v[30:31], -v[32:33]
	;; [unrolled: 1-line block ×3, first 2 shown]
	v_fma_f64 v[20:21], v[70:71], -0.5, v[20:21]
	v_add_f64 v[24:25], v[24:25], v[28:29]
	v_fma_f64 v[70:71], v[34:35], s[14:15], v[20:21]
	v_fma_f64 v[20:21], v[34:35], s[16:17], v[20:21]
	;; [unrolled: 1-line block ×4, first 2 shown]
	v_add_f64 v[38:39], v[36:37], -v[40:41]
	v_fma_f64 v[28:29], v[24:25], s[2:3], v[70:71]
	v_fma_f64 v[24:25], v[24:25], s[2:3], v[20:21]
	v_add_f64 v[20:21], v[4:5], v[36:37]
	v_add_f64 v[70:71], v[60:61], -v[62:63]
	v_add_f64 v[78:79], v[38:39], v[78:79]
	v_add_f64 v[20:21], v[20:21], v[40:41]
	;; [unrolled: 1-line block ×5, first 2 shown]
	v_add_f64 v[66:67], v[40:41], -v[66:67]
	v_fma_f64 v[20:21], v[20:21], -0.5, v[4:5]
	v_fma_f64 v[34:35], v[32:33], s[14:15], v[20:21]
	v_fma_f64 v[20:21], v[32:33], s[16:17], v[20:21]
	;; [unrolled: 1-line block ×6, first 2 shown]
	v_add_f64 v[20:21], v[36:37], v[68:69]
	v_add_f64 v[78:79], v[40:41], -v[36:37]
	v_add_f64 v[68:69], v[36:37], -v[68:69]
	;; [unrolled: 1-line block ×3, first 2 shown]
	v_fma_f64 v[20:21], v[20:21], -0.5, v[4:5]
	v_add_f64 v[78:79], v[78:79], v[80:81]
	v_fma_f64 v[4:5], v[70:71], s[16:17], v[20:21]
	v_fma_f64 v[20:21], v[70:71], s[14:15], v[20:21]
	v_add_f64 v[70:71], v[64:65], -v[62:63]
	v_fma_f64 v[4:5], v[32:33], s[4:5], v[4:5]
	v_fma_f64 v[20:21], v[32:33], s[18:19], v[20:21]
	v_add_f64 v[70:71], v[40:41], v[70:71]
	v_fma_f64 v[4:5], v[78:79], s[2:3], v[4:5]
	v_fma_f64 v[78:79], v[78:79], s[2:3], v[20:21]
	v_add_f64 v[20:21], v[6:7], v[58:59]
	v_add_f64 v[20:21], v[20:21], v[60:61]
	;; [unrolled: 1-line block ×5, first 2 shown]
	v_fma_f64 v[20:21], v[20:21], -0.5, v[6:7]
	v_fma_f64 v[36:37], v[68:69], s[16:17], v[20:21]
	v_fma_f64 v[20:21], v[68:69], s[14:15], v[20:21]
	;; [unrolled: 1-line block ×6, first 2 shown]
	v_add_f64 v[20:21], v[58:59], v[64:65]
	v_add_f64 v[58:59], v[60:61], -v[58:59]
	v_add_f64 v[60:61], v[62:63], -v[64:65]
	;; [unrolled: 1-line block ×4, first 2 shown]
	v_fma_f64 v[20:21], v[20:21], -0.5, v[6:7]
	v_add_f64 v[58:59], v[58:59], v[60:61]
	v_add_f64 v[60:61], v[42:43], -v[48:49]
	v_fma_f64 v[6:7], v[66:67], s[14:15], v[20:21]
	v_fma_f64 v[20:21], v[66:67], s[16:17], v[20:21]
	v_add_f64 v[66:67], v[50:51], -v[52:53]
	v_fma_f64 v[6:7], v[68:69], s[18:19], v[6:7]
	v_fma_f64 v[20:21], v[68:69], s[4:5], v[20:21]
	;; [unrolled: 3-line block ×3, first 2 shown]
	v_add_f64 v[20:21], v[0:1], v[50:51]
	v_add_f64 v[66:67], v[66:67], v[68:69]
	v_add_f64 v[68:69], v[52:53], -v[50:51]
	ds_write_b128 v178, v[8:11]
	ds_write_b128 v178, v[12:15] offset:1456
	ds_write_b128 v178, v[26:29] offset:2912
	;; [unrolled: 1-line block ×9, first 2 shown]
	v_add_f64 v[20:21], v[20:21], v[52:53]
	v_add_f64 v[68:69], v[68:69], v[70:71]
	;; [unrolled: 1-line block ×5, first 2 shown]
	v_add_f64 v[52:53], v[52:53], -v[54:55]
	v_fma_f64 v[20:21], v[20:21], -0.5, v[0:1]
	v_fma_f64 v[62:63], v[60:61], s[14:15], v[20:21]
	v_fma_f64 v[20:21], v[60:61], s[16:17], v[20:21]
	;; [unrolled: 1-line block ×6, first 2 shown]
	v_add_f64 v[20:21], v[50:51], v[56:57]
	v_add_f64 v[50:51], v[50:51], -v[56:57]
	v_fma_f64 v[20:21], v[20:21], -0.5, v[0:1]
	v_fma_f64 v[0:1], v[64:65], s[16:17], v[20:21]
	v_fma_f64 v[20:21], v[64:65], s[14:15], v[20:21]
	v_add_f64 v[64:65], v[48:49], -v[46:47]
	v_fma_f64 v[0:1], v[60:61], s[4:5], v[0:1]
	v_fma_f64 v[20:21], v[60:61], s[18:19], v[20:21]
	;; [unrolled: 1-line block ×4, first 2 shown]
	v_add_f64 v[20:21], v[2:3], v[42:43]
	v_add_f64 v[20:21], v[20:21], v[44:45]
	;; [unrolled: 1-line block ×5, first 2 shown]
	v_fma_f64 v[20:21], v[20:21], -0.5, v[2:3]
	v_fma_f64 v[56:57], v[50:51], s[16:17], v[20:21]
	v_fma_f64 v[20:21], v[50:51], s[14:15], v[20:21]
	;; [unrolled: 1-line block ×3, first 2 shown]
	v_add_f64 v[56:57], v[42:43], -v[44:45]
	v_fma_f64 v[20:21], v[52:53], s[4:5], v[20:21]
	v_add_f64 v[56:57], v[56:57], v[64:65]
	v_fma_f64 v[68:69], v[56:57], s[2:3], v[20:21]
	v_add_f64 v[20:21], v[42:43], v[48:49]
	v_add_f64 v[42:43], v[44:45], -v[42:43]
	v_add_f64 v[44:45], v[46:47], -v[48:49]
	v_fma_f64 v[64:65], v[56:57], s[2:3], v[54:55]
	v_fma_f64 v[20:21], v[20:21], -0.5, v[2:3]
	v_add_f64 v[42:43], v[42:43], v[44:45]
	v_fma_f64 v[2:3], v[52:53], s[14:15], v[20:21]
	v_fma_f64 v[20:21], v[52:53], s[16:17], v[20:21]
	;; [unrolled: 1-line block ×4, first 2 shown]
	s_movk_i32 s4, 0x1ba0
	s_mov_b32 s5, 0xbfebb67a
	v_fma_f64 v[2:3], v[42:43], s[2:3], v[2:3]
	v_fma_f64 v[86:87], v[42:43], s[2:3], v[20:21]
	ds_write_b128 v181, v[58:61] offset:14560
	ds_write_b128 v181, v[62:65] offset:16016
	;; [unrolled: 1-line block ×5, first 2 shown]
	v_sub_co_u32_e64 v62, s[2:3], v75, v73
	v_subbrev_co_u32_e64 v63, s[2:3], 0, v76, s[2:3]
	v_add_co_u32_e64 v60, s[2:3], s4, v62
	v_addc_co_u32_e64 v61, s[2:3], 0, v63, s[2:3]
	v_add_co_u32_e64 v62, s[2:3], s13, v62
	v_addc_co_u32_e64 v63, s[2:3], 0, v63, s[2:3]
	s_waitcnt lgkmcnt(0)
	s_barrier
	ds_read_b128 v[16:19], v178
	ds_read_b128 v[20:23], v178 offset:7280
	ds_read_b128 v[24:27], v178 offset:14560
	ds_read_b128 v[12:15], v178 offset:1456
	ds_read_b128 v[28:31], v178 offset:8736
	ds_read_b128 v[32:35], v178 offset:16016
	ds_read_b128 v[8:11], v178 offset:2912
	ds_read_b128 v[36:39], v178 offset:10192
	ds_read_b128 v[40:43], v178 offset:17472
	ds_read_b128 v[4:7], v178 offset:4368
	ds_read_b128 v[44:47], v178 offset:11648
	ds_read_b128 v[48:51], v178 offset:18928
	ds_read_b128 v[0:3], v178 offset:5824
	ds_read_b128 v[52:55], v178 offset:13104
	ds_read_b128 v[56:59], v178 offset:20384
	global_load_dwordx4 v[62:65], v[62:63], off offset:2976
	s_nop 0
	global_load_dwordx4 v[66:69], v[60:61], off offset:16
	s_waitcnt vmcnt(1) lgkmcnt(13)
	v_mul_f64 v[60:61], v[22:23], v[64:65]
	v_fma_f64 v[60:61], v[20:21], v[62:63], -v[60:61]
	v_mul_f64 v[20:21], v[20:21], v[64:65]
	buffer_store_dword v62, off, s[52:55], 0 offset:488 ; 4-byte Folded Spill
	s_nop 0
	buffer_store_dword v63, off, s[52:55], 0 offset:492 ; 4-byte Folded Spill
	buffer_store_dword v64, off, s[52:55], 0 offset:496 ; 4-byte Folded Spill
	;; [unrolled: 1-line block ×3, first 2 shown]
	v_fma_f64 v[62:63], v[22:23], v[62:63], v[20:21]
	s_waitcnt vmcnt(4) lgkmcnt(12)
	v_mul_f64 v[20:21], v[26:27], v[68:69]
	v_fma_f64 v[64:65], v[24:25], v[66:67], -v[20:21]
	v_mul_f64 v[20:21], v[24:25], v[68:69]
	buffer_store_dword v66, off, s[52:55], 0 offset:504 ; 4-byte Folded Spill
	s_nop 0
	buffer_store_dword v67, off, s[52:55], 0 offset:508 ; 4-byte Folded Spill
	buffer_store_dword v68, off, s[52:55], 0 offset:512 ; 4-byte Folded Spill
	;; [unrolled: 1-line block ×3, first 2 shown]
	v_fma_f64 v[26:27], v[26:27], v[66:67], v[20:21]
	v_lshlrev_b32_e32 v20, 5, v82
	v_add_co_u32_e64 v22, s[2:3], s12, v20
	v_addc_co_u32_e64 v23, s[2:3], 0, v74, s[2:3]
	v_add_co_u32_e64 v20, s[2:3], s4, v22
	v_addc_co_u32_e64 v21, s[2:3], 0, v23, s[2:3]
	;; [unrolled: 2-line block ×3, first 2 shown]
	global_load_dwordx4 v[68:71], v[22:23], off offset:2976
	s_nop 0
	global_load_dwordx4 v[22:25], v[20:21], off offset:16
	s_waitcnt vmcnt(1) lgkmcnt(10)
	v_mul_f64 v[20:21], v[30:31], v[70:71]
	v_fma_f64 v[66:67], v[28:29], v[68:69], -v[20:21]
	v_mul_f64 v[20:21], v[28:29], v[70:71]
	buffer_store_dword v68, off, s[52:55], 0 offset:536 ; 4-byte Folded Spill
	s_nop 0
	buffer_store_dword v69, off, s[52:55], 0 offset:540 ; 4-byte Folded Spill
	buffer_store_dword v70, off, s[52:55], 0 offset:544 ; 4-byte Folded Spill
	;; [unrolled: 1-line block ×3, first 2 shown]
	v_fma_f64 v[68:69], v[30:31], v[68:69], v[20:21]
	s_waitcnt vmcnt(4) lgkmcnt(9)
	v_mul_f64 v[20:21], v[34:35], v[24:25]
	v_fma_f64 v[70:71], v[32:33], v[22:23], -v[20:21]
	v_mul_f64 v[20:21], v[32:33], v[24:25]
	buffer_store_dword v22, off, s[52:55], 0 offset:520 ; 4-byte Folded Spill
	s_nop 0
	buffer_store_dword v23, off, s[52:55], 0 offset:524 ; 4-byte Folded Spill
	buffer_store_dword v24, off, s[52:55], 0 offset:528 ; 4-byte Folded Spill
	;; [unrolled: 1-line block ×3, first 2 shown]
	v_fma_f64 v[34:35], v[34:35], v[22:23], v[20:21]
	v_lshlrev_b32_e32 v20, 5, v83
	v_add_co_u32_e64 v22, s[2:3], s12, v20
	v_addc_co_u32_e64 v23, s[2:3], 0, v74, s[2:3]
	v_add_co_u32_e64 v20, s[2:3], s4, v22
	v_addc_co_u32_e64 v21, s[2:3], 0, v23, s[2:3]
	;; [unrolled: 2-line block ×3, first 2 shown]
	global_load_dwordx4 v[22:25], v[22:23], off offset:2976
	s_nop 0
	global_load_dwordx4 v[28:31], v[20:21], off offset:16
	v_add_f64 v[32:33], v[68:69], -v[34:35]
	s_waitcnt vmcnt(1) lgkmcnt(7)
	v_mul_f64 v[20:21], v[38:39], v[24:25]
	v_fma_f64 v[75:76], v[36:37], v[22:23], -v[20:21]
	v_mul_f64 v[20:21], v[36:37], v[24:25]
	buffer_store_dword v22, off, s[52:55], 0 offset:552 ; 4-byte Folded Spill
	s_nop 0
	buffer_store_dword v23, off, s[52:55], 0 offset:556 ; 4-byte Folded Spill
	buffer_store_dword v24, off, s[52:55], 0 offset:560 ; 4-byte Folded Spill
	;; [unrolled: 1-line block ×3, first 2 shown]
	v_add_f64 v[36:37], v[66:67], -v[70:71]
	v_fma_f64 v[77:78], v[38:39], v[22:23], v[20:21]
	s_waitcnt vmcnt(4) lgkmcnt(6)
	v_mul_f64 v[20:21], v[42:43], v[30:31]
	v_fma_f64 v[79:80], v[40:41], v[28:29], -v[20:21]
	v_mul_f64 v[20:21], v[40:41], v[30:31]
	buffer_store_dword v28, off, s[52:55], 0 offset:568 ; 4-byte Folded Spill
	s_nop 0
	buffer_store_dword v29, off, s[52:55], 0 offset:572 ; 4-byte Folded Spill
	buffer_store_dword v30, off, s[52:55], 0 offset:576 ; 4-byte Folded Spill
	;; [unrolled: 1-line block ×3, first 2 shown]
	v_add_f64 v[38:39], v[75:76], v[79:80]
	v_fma_f64 v[38:39], v[38:39], -0.5, v[8:9]
	v_fma_f64 v[42:43], v[42:43], v[28:29], v[20:21]
	v_add_u32_e32 v20, 0x2220, v73
	v_add_co_u32_e64 v22, s[2:3], s12, v20
	v_addc_co_u32_e64 v23, s[2:3], 0, v74, s[2:3]
	v_add_co_u32_e64 v20, s[2:3], s4, v22
	v_addc_co_u32_e64 v21, s[2:3], 0, v23, s[2:3]
	;; [unrolled: 2-line block ×3, first 2 shown]
	global_load_dwordx4 v[28:31], v[22:23], off offset:2976
	s_nop 0
	global_load_dwordx4 v[22:25], v[20:21], off offset:16
	v_add_f64 v[40:41], v[77:78], -v[42:43]
	s_waitcnt vmcnt(1) lgkmcnt(4)
	v_mul_f64 v[20:21], v[46:47], v[30:31]
	v_fma_f64 v[81:82], v[44:45], v[28:29], -v[20:21]
	v_mul_f64 v[20:21], v[44:45], v[30:31]
	buffer_store_dword v28, off, s[52:55], 0 offset:600 ; 4-byte Folded Spill
	s_nop 0
	buffer_store_dword v29, off, s[52:55], 0 offset:604 ; 4-byte Folded Spill
	buffer_store_dword v30, off, s[52:55], 0 offset:608 ; 4-byte Folded Spill
	buffer_store_dword v31, off, s[52:55], 0 offset:612 ; 4-byte Folded Spill
	v_add_f64 v[30:31], v[66:67], v[70:71]
	v_add_f64 v[44:45], v[75:76], -v[79:80]
	v_fma_f64 v[30:31], v[30:31], -0.5, v[12:13]
	v_fma_f64 v[83:84], v[46:47], v[28:29], v[20:21]
	s_waitcnt vmcnt(4) lgkmcnt(3)
	v_mul_f64 v[20:21], v[50:51], v[24:25]
	v_add_f64 v[28:29], v[60:61], -v[64:65]
	v_fma_f64 v[85:86], v[48:49], v[22:23], -v[20:21]
	v_mul_f64 v[20:21], v[48:49], v[24:25]
	buffer_store_dword v22, off, s[52:55], 0 offset:584 ; 4-byte Folded Spill
	s_nop 0
	buffer_store_dword v23, off, s[52:55], 0 offset:588 ; 4-byte Folded Spill
	buffer_store_dword v24, off, s[52:55], 0 offset:592 ; 4-byte Folded Spill
	;; [unrolled: 1-line block ×3, first 2 shown]
	v_add_f64 v[46:47], v[81:82], v[85:86]
	v_fma_f64 v[46:47], v[46:47], -0.5, v[4:5]
	v_fma_f64 v[50:51], v[50:51], v[22:23], v[20:21]
	v_add_u32_e32 v20, 0x2d80, v73
	v_add_co_u32_e64 v22, s[2:3], s12, v20
	v_addc_co_u32_e64 v23, s[2:3], 0, v74, s[2:3]
	v_add_co_u32_e64 v20, s[2:3], s4, v22
	v_addc_co_u32_e64 v21, s[2:3], 0, v23, s[2:3]
	;; [unrolled: 2-line block ×3, first 2 shown]
	global_load_dwordx4 v[22:25], v[22:23], off offset:2976
	s_nop 0
	global_load_dwordx4 v[212:215], v[20:21], off offset:16
	s_mov_b32 s2, 0xe8584caa
	s_mov_b32 s3, 0x3febb67a
	;; [unrolled: 1-line block ×3, first 2 shown]
	v_add_f64 v[48:49], v[83:84], -v[50:51]
	s_movk_i32 s12, 0x5000
	s_waitcnt vmcnt(1) lgkmcnt(1)
	v_mul_f64 v[20:21], v[54:55], v[24:25]
	v_fma_f64 v[73:74], v[52:53], v[22:23], -v[20:21]
	v_mul_f64 v[20:21], v[52:53], v[24:25]
	buffer_store_dword v22, off, s[52:55], 0 offset:616 ; 4-byte Folded Spill
	s_nop 0
	buffer_store_dword v23, off, s[52:55], 0 offset:620 ; 4-byte Folded Spill
	buffer_store_dword v24, off, s[52:55], 0 offset:624 ; 4-byte Folded Spill
	;; [unrolled: 1-line block ×3, first 2 shown]
	v_add_f64 v[24:25], v[62:63], -v[26:27]
	v_add_f64 v[52:53], v[81:82], -v[85:86]
	v_fma_f64 v[87:88], v[54:55], v[22:23], v[20:21]
	s_waitcnt vmcnt(4) lgkmcnt(0)
	v_mul_f64 v[20:21], v[58:59], v[214:215]
	v_add_f64 v[22:23], v[60:61], v[64:65]
	v_fma_f64 v[89:90], v[56:57], v[212:213], -v[20:21]
	v_mul_f64 v[20:21], v[56:57], v[214:215]
	v_fma_f64 v[22:23], v[22:23], -0.5, v[16:17]
	v_add_f64 v[54:55], v[73:74], v[89:90]
	v_fma_f64 v[56:57], v[58:59], v[212:213], v[20:21]
	v_add_f64 v[20:21], v[16:17], v[60:61]
	v_fma_f64 v[16:17], v[24:25], s[2:3], v[22:23]
	v_fma_f64 v[24:25], v[24:25], s[4:5], v[22:23]
	v_add_f64 v[22:23], v[18:19], v[62:63]
	v_add_f64 v[20:21], v[20:21], v[64:65]
	v_add_f64 v[22:23], v[22:23], v[26:27]
	v_add_f64 v[26:27], v[62:63], v[26:27]
	ds_write_b128 v178, v[20:23]
	v_fma_f64 v[26:27], v[26:27], -0.5, v[18:19]
	buffer_store_dword v185, off, s[52:55], 0 offset:8 ; 4-byte Folded Spill
	buffer_store_dword v186, off, s[52:55], 0 offset:648 ; 4-byte Folded Spill
	v_fma_f64 v[18:19], v[28:29], s[4:5], v[26:27]
	v_fma_f64 v[26:27], v[28:29], s[2:3], v[26:27]
	v_add_f64 v[28:29], v[12:13], v[66:67]
	v_fma_f64 v[12:13], v[32:33], s[2:3], v[30:31]
	v_fma_f64 v[32:33], v[32:33], s[4:5], v[30:31]
	v_add_f64 v[30:31], v[14:15], v[68:69]
	v_add_f64 v[28:29], v[28:29], v[70:71]
	v_add_f64 v[30:31], v[30:31], v[34:35]
	v_add_f64 v[34:35], v[68:69], v[34:35]
	v_fma_f64 v[34:35], v[34:35], -0.5, v[14:15]
	v_fma_f64 v[14:15], v[36:37], s[4:5], v[34:35]
	v_fma_f64 v[34:35], v[36:37], s[2:3], v[34:35]
	v_add_f64 v[36:37], v[8:9], v[75:76]
	v_fma_f64 v[8:9], v[40:41], s[2:3], v[38:39]
	v_fma_f64 v[40:41], v[40:41], s[4:5], v[38:39]
	v_add_f64 v[38:39], v[10:11], v[77:78]
	v_add_f64 v[36:37], v[36:37], v[79:80]
	v_add_f64 v[38:39], v[38:39], v[42:43]
	v_add_f64 v[42:43], v[77:78], v[42:43]
	v_fma_f64 v[42:43], v[42:43], -0.5, v[10:11]
	;; [unrolled: 10-line block ×3, first 2 shown]
	v_fma_f64 v[6:7], v[52:53], s[4:5], v[50:51]
	v_fma_f64 v[50:51], v[52:53], s[2:3], v[50:51]
	v_add_f64 v[52:53], v[0:1], v[73:74]
	v_fma_f64 v[0:1], v[54:55], -0.5, v[0:1]
	v_add_f64 v[54:55], v[87:88], -v[56:57]
	v_add_f64 v[52:53], v[52:53], v[89:90]
	v_fma_f64 v[240:241], v[54:55], s[2:3], v[0:1]
	v_fma_f64 v[244:245], v[54:55], s[4:5], v[0:1]
	v_add_f64 v[0:1], v[2:3], v[87:88]
	v_add_f64 v[54:55], v[0:1], v[56:57]
	v_add_f64 v[0:1], v[87:88], v[56:57]
	v_fma_f64 v[0:1], v[0:1], -0.5, v[2:3]
	v_add_f64 v[2:3], v[73:74], -v[89:90]
	v_fma_f64 v[246:247], v[2:3], s[2:3], v[0:1]
	s_movk_i32 s2, 0x5550
	v_fma_f64 v[242:243], v[2:3], s[4:5], v[0:1]
	v_add_co_u32_e64 v0, s[2:3], s2, v96
	v_addc_co_u32_e64 v1, s[2:3], 0, v72, s[2:3]
	ds_write_b128 v180, v[16:19] offset:7280
	ds_write_b128 v180, v[24:27] offset:14560
	;; [unrolled: 1-line block ×14, first 2 shown]
	v_add_co_u32_e64 v6, s[2:3], s12, v96
	v_addc_co_u32_e64 v7, s[2:3], 0, v72, s[2:3]
	s_waitcnt vmcnt(0) lgkmcnt(0)
	s_barrier
	global_load_dwordx4 v[6:9], v[6:7], off offset:1360
	ds_read_b128 v[2:5], v178
	s_movk_i32 s2, 0x6000
	v_add_co_u32_e64 v14, s[2:3], s2, v96
	v_addc_co_u32_e64 v15, s[2:3], 0, v72, s[2:3]
	s_movk_i32 s2, 0x7000
	s_waitcnt vmcnt(0) lgkmcnt(0)
	v_mul_f64 v[10:11], v[4:5], v[8:9]
	v_fma_f64 v[10:11], v[2:3], v[6:7], -v[10:11]
	v_mul_f64 v[2:3], v[2:3], v[8:9]
	v_fma_f64 v[12:13], v[4:5], v[6:7], v[2:3]
	global_load_dwordx4 v[6:9], v[0:1], off offset:1680
	ds_read_b128 v[2:5], v178 offset:1680
	ds_write_b128 v178, v[10:13]
	s_waitcnt vmcnt(0) lgkmcnt(1)
	v_mul_f64 v[10:11], v[4:5], v[8:9]
	v_fma_f64 v[10:11], v[2:3], v[6:7], -v[10:11]
	v_mul_f64 v[2:3], v[2:3], v[8:9]
	v_fma_f64 v[12:13], v[4:5], v[6:7], v[2:3]
	global_load_dwordx4 v[6:9], v[0:1], off offset:3360
	ds_read_b128 v[2:5], v178 offset:3360
	ds_write_b128 v178, v[10:13] offset:1680
	s_waitcnt vmcnt(0) lgkmcnt(1)
	v_mul_f64 v[10:11], v[4:5], v[8:9]
	v_fma_f64 v[10:11], v[2:3], v[6:7], -v[10:11]
	v_mul_f64 v[2:3], v[2:3], v[8:9]
	v_fma_f64 v[12:13], v[4:5], v[6:7], v[2:3]
	global_load_dwordx4 v[6:9], v[14:15], off offset:2304
	ds_read_b128 v[2:5], v178 offset:5040
	ds_write_b128 v178, v[10:13] offset:3360
	s_waitcnt vmcnt(0) lgkmcnt(1)
	v_mul_f64 v[10:11], v[4:5], v[8:9]
	v_fma_f64 v[10:11], v[2:3], v[6:7], -v[10:11]
	v_mul_f64 v[2:3], v[2:3], v[8:9]
	v_fma_f64 v[12:13], v[4:5], v[6:7], v[2:3]
	global_load_dwordx4 v[6:9], v[14:15], off offset:3984
	ds_read_b128 v[2:5], v178 offset:6720
	v_add_co_u32_e64 v14, s[2:3], s2, v96
	v_addc_co_u32_e64 v15, s[2:3], 0, v72, s[2:3]
	s_mov_b32 s2, 0x8000
	ds_write_b128 v178, v[10:13] offset:5040
	s_waitcnt vmcnt(0) lgkmcnt(1)
	v_mul_f64 v[10:11], v[4:5], v[8:9]
	v_fma_f64 v[10:11], v[2:3], v[6:7], -v[10:11]
	v_mul_f64 v[2:3], v[2:3], v[8:9]
	v_fma_f64 v[12:13], v[4:5], v[6:7], v[2:3]
	global_load_dwordx4 v[6:9], v[14:15], off offset:1568
	ds_read_b128 v[2:5], v178 offset:8400
	ds_write_b128 v178, v[10:13] offset:6720
	s_waitcnt vmcnt(0) lgkmcnt(1)
	v_mul_f64 v[10:11], v[4:5], v[8:9]
	v_fma_f64 v[10:11], v[2:3], v[6:7], -v[10:11]
	v_mul_f64 v[2:3], v[2:3], v[8:9]
	v_fma_f64 v[12:13], v[4:5], v[6:7], v[2:3]
	global_load_dwordx4 v[6:9], v[14:15], off offset:3248
	ds_read_b128 v[2:5], v178 offset:10080
	v_add_co_u32_e64 v14, s[2:3], s2, v96
	v_addc_co_u32_e64 v15, s[2:3], 0, v72, s[2:3]
	s_mov_b32 s2, 0x9000
	;; [unrolled: 19-line block ×3, first 2 shown]
	ds_write_b128 v178, v[10:13] offset:11760
	s_waitcnt vmcnt(0) lgkmcnt(1)
	v_mul_f64 v[10:11], v[4:5], v[8:9]
	v_fma_f64 v[10:11], v[2:3], v[6:7], -v[10:11]
	v_mul_f64 v[2:3], v[2:3], v[8:9]
	v_fma_f64 v[12:13], v[4:5], v[6:7], v[2:3]
	global_load_dwordx4 v[6:9], v[14:15], off offset:96
	ds_read_b128 v[2:5], v178 offset:15120
	ds_write_b128 v178, v[10:13] offset:13440
	s_waitcnt vmcnt(0) lgkmcnt(1)
	v_mul_f64 v[10:11], v[4:5], v[8:9]
	v_fma_f64 v[10:11], v[2:3], v[6:7], -v[10:11]
	v_mul_f64 v[2:3], v[2:3], v[8:9]
	v_fma_f64 v[12:13], v[4:5], v[6:7], v[2:3]
	global_load_dwordx4 v[6:9], v[14:15], off offset:1776
	ds_read_b128 v[2:5], v178 offset:16800
	;; [unrolled: 8-line block ×3, first 2 shown]
	ds_write_b128 v178, v[10:13] offset:16800
	s_waitcnt vmcnt(0) lgkmcnt(1)
	v_mul_f64 v[10:11], v[4:5], v[8:9]
	v_fma_f64 v[10:11], v[2:3], v[6:7], -v[10:11]
	v_mul_f64 v[2:3], v[2:3], v[8:9]
	v_fma_f64 v[12:13], v[4:5], v[6:7], v[2:3]
	v_add_co_u32_e64 v6, s[2:3], s2, v96
	v_addc_co_u32_e64 v7, s[2:3], 0, v72, s[2:3]
	global_load_dwordx4 v[6:9], v[6:7], off offset:1040
	ds_read_b128 v[2:5], v178 offset:20160
	ds_write_b128 v178, v[10:13] offset:18480
	s_waitcnt vmcnt(0) lgkmcnt(1)
	v_mul_f64 v[10:11], v[4:5], v[8:9]
	v_fma_f64 v[10:11], v[2:3], v[6:7], -v[10:11]
	v_mul_f64 v[2:3], v[2:3], v[8:9]
	v_fma_f64 v[12:13], v[4:5], v[6:7], v[2:3]
	ds_write_b128 v178, v[10:13] offset:20160
	s_and_saveexec_b64 s[4:5], vcc
	s_cbranch_execz .LBB0_13
; %bb.12:
	global_load_dwordx4 v[6:9], v[0:1], off offset:1456
	ds_read_b128 v[2:5], v180 offset:1456
	v_add_co_u32_e64 v14, s[2:3], s13, v0
	v_addc_co_u32_e64 v15, s[2:3], 0, v1, s[2:3]
	s_movk_i32 s2, 0x2000
	s_waitcnt vmcnt(0) lgkmcnt(0)
	v_mul_f64 v[10:11], v[4:5], v[8:9]
	v_fma_f64 v[10:11], v[2:3], v[6:7], -v[10:11]
	v_mul_f64 v[2:3], v[2:3], v[8:9]
	v_fma_f64 v[12:13], v[4:5], v[6:7], v[2:3]
	global_load_dwordx4 v[6:9], v[0:1], off offset:3136
	ds_read_b128 v[2:5], v180 offset:3136
	ds_write_b128 v180, v[10:13] offset:1456
	s_waitcnt vmcnt(0) lgkmcnt(1)
	v_mul_f64 v[10:11], v[4:5], v[8:9]
	v_fma_f64 v[10:11], v[2:3], v[6:7], -v[10:11]
	v_mul_f64 v[2:3], v[2:3], v[8:9]
	v_fma_f64 v[12:13], v[4:5], v[6:7], v[2:3]
	global_load_dwordx4 v[6:9], v[14:15], off offset:720
	ds_read_b128 v[2:5], v180 offset:4816
	ds_write_b128 v180, v[10:13] offset:3136
	;; [unrolled: 8-line block ×3, first 2 shown]
	s_waitcnt vmcnt(0) lgkmcnt(1)
	v_mul_f64 v[10:11], v[4:5], v[8:9]
	v_fma_f64 v[10:11], v[2:3], v[6:7], -v[10:11]
	v_mul_f64 v[2:3], v[2:3], v[8:9]
	v_fma_f64 v[12:13], v[4:5], v[6:7], v[2:3]
	global_load_dwordx4 v[6:9], v[14:15], off offset:4080
	ds_read_b128 v[2:5], v180 offset:8176
	v_add_co_u32_e64 v14, s[2:3], s2, v0
	v_addc_co_u32_e64 v15, s[2:3], 0, v1, s[2:3]
	s_movk_i32 s2, 0x3000
	ds_write_b128 v180, v[10:13] offset:6496
	s_waitcnt vmcnt(0) lgkmcnt(1)
	v_mul_f64 v[10:11], v[4:5], v[8:9]
	v_fma_f64 v[10:11], v[2:3], v[6:7], -v[10:11]
	v_mul_f64 v[2:3], v[2:3], v[8:9]
	v_fma_f64 v[12:13], v[4:5], v[6:7], v[2:3]
	global_load_dwordx4 v[6:9], v[14:15], off offset:1664
	ds_read_b128 v[2:5], v180 offset:9856
	ds_write_b128 v180, v[10:13] offset:8176
	s_waitcnt vmcnt(0) lgkmcnt(1)
	v_mul_f64 v[10:11], v[4:5], v[8:9]
	v_fma_f64 v[10:11], v[2:3], v[6:7], -v[10:11]
	v_mul_f64 v[2:3], v[2:3], v[8:9]
	v_fma_f64 v[12:13], v[4:5], v[6:7], v[2:3]
	global_load_dwordx4 v[6:9], v[14:15], off offset:3344
	ds_read_b128 v[2:5], v180 offset:11536
	v_add_co_u32_e64 v14, s[2:3], s2, v0
	v_addc_co_u32_e64 v15, s[2:3], 0, v1, s[2:3]
	s_movk_i32 s2, 0x4000
	ds_write_b128 v180, v[10:13] offset:9856
	s_waitcnt vmcnt(0) lgkmcnt(1)
	v_mul_f64 v[10:11], v[4:5], v[8:9]
	v_fma_f64 v[10:11], v[2:3], v[6:7], -v[10:11]
	v_mul_f64 v[2:3], v[2:3], v[8:9]
	v_fma_f64 v[12:13], v[4:5], v[6:7], v[2:3]
	global_load_dwordx4 v[6:9], v[14:15], off offset:928
	ds_read_b128 v[2:5], v180 offset:13216
	ds_write_b128 v180, v[10:13] offset:11536
	s_waitcnt vmcnt(0) lgkmcnt(1)
	v_mul_f64 v[10:11], v[4:5], v[8:9]
	v_fma_f64 v[10:11], v[2:3], v[6:7], -v[10:11]
	v_mul_f64 v[2:3], v[2:3], v[8:9]
	v_fma_f64 v[12:13], v[4:5], v[6:7], v[2:3]
	global_load_dwordx4 v[6:9], v[14:15], off offset:2608
	ds_read_b128 v[2:5], v180 offset:14896
	v_add_co_u32_e64 v14, s[2:3], s2, v0
	v_addc_co_u32_e64 v15, s[2:3], 0, v1, s[2:3]
	v_add_co_u32_e64 v0, s[2:3], s12, v0
	ds_write_b128 v180, v[10:13] offset:13216
	v_addc_co_u32_e64 v1, s[2:3], 0, v1, s[2:3]
	s_waitcnt vmcnt(0) lgkmcnt(1)
	v_mul_f64 v[10:11], v[4:5], v[8:9]
	v_fma_f64 v[10:11], v[2:3], v[6:7], -v[10:11]
	v_mul_f64 v[2:3], v[2:3], v[8:9]
	v_fma_f64 v[12:13], v[4:5], v[6:7], v[2:3]
	global_load_dwordx4 v[6:9], v[14:15], off offset:192
	ds_read_b128 v[2:5], v180 offset:16576
	ds_write_b128 v180, v[10:13] offset:14896
	s_waitcnt vmcnt(0) lgkmcnt(1)
	v_mul_f64 v[10:11], v[4:5], v[8:9]
	v_fma_f64 v[10:11], v[2:3], v[6:7], -v[10:11]
	v_mul_f64 v[2:3], v[2:3], v[8:9]
	v_fma_f64 v[12:13], v[4:5], v[6:7], v[2:3]
	global_load_dwordx4 v[6:9], v[14:15], off offset:1872
	ds_read_b128 v[2:5], v180 offset:18256
	ds_write_b128 v180, v[10:13] offset:16576
	;; [unrolled: 8-line block ×4, first 2 shown]
	s_waitcnt vmcnt(0) lgkmcnt(1)
	v_mul_f64 v[0:1], v[4:5], v[8:9]
	v_fma_f64 v[0:1], v[2:3], v[6:7], -v[0:1]
	v_mul_f64 v[2:3], v[2:3], v[8:9]
	v_fma_f64 v[2:3], v[4:5], v[6:7], v[2:3]
	ds_write_b128 v180, v[0:3] offset:21616
.LBB0_13:
	s_or_b64 exec, exec, s[4:5]
	s_waitcnt lgkmcnt(0)
	s_barrier
	ds_read_b128 v[36:39], v178
	ds_read_b128 v[40:43], v178 offset:1680
	ds_read_b128 v[28:31], v178 offset:3360
	;; [unrolled: 1-line block ×12, first 2 shown]
	s_and_saveexec_b64 s[2:3], vcc
	s_cbranch_execz .LBB0_15
; %bb.14:
	ds_read_b128 v[240:243], v180 offset:1456
	ds_read_b128 v[244:247], v180 offset:3136
	;; [unrolled: 1-line block ×13, first 2 shown]
.LBB0_15:
	s_or_b64 exec, exec, s[2:3]
	s_waitcnt lgkmcnt(11)
	v_add_f64 v[48:49], v[36:37], v[40:41]
	v_add_f64 v[50:51], v[38:39], v[42:43]
	s_mov_b32 s42, 0x4267c47c
	s_mov_b32 s34, 0x42a4c3d2
	s_mov_b32 s22, 0x66966769
	s_mov_b32 s26, 0x2ef20147
	s_mov_b32 s30, 0x24c2f84
	s_mov_b32 s38, 0x4bc48dbf
	s_waitcnt lgkmcnt(10)
	v_add_f64 v[48:49], v[48:49], v[28:29]
	v_add_f64 v[50:51], v[50:51], v[30:31]
	s_mov_b32 s43, 0xbfddbe06
	s_mov_b32 s35, 0xbfea55e2
	s_mov_b32 s23, 0xbfefc445
	s_mov_b32 s27, 0xbfedeba7
	s_mov_b32 s31, 0xbfe5384d
	s_mov_b32 s39, 0xbfcea1e5
	;; [unrolled: 9-line block ×6, first 2 shown]
	s_waitcnt lgkmcnt(5)
	v_add_f64 v[48:49], v[48:49], v[0:1]
	v_add_f64 v[50:51], v[50:51], v[2:3]
	s_waitcnt lgkmcnt(2)
	v_add_f64 v[100:101], v[220:221], v[200:201]
	v_add_f64 v[102:103], v[222:223], v[202:203]
	;; [unrolled: 1-line block ×8, first 2 shown]
	v_add_f64 v[106:107], v[234:235], -v[238:239]
	s_waitcnt lgkmcnt(0)
	v_mov_b32_e32 v195, v190
	v_mov_b32_e32 v194, v189
	;; [unrolled: 1-line block ×4, first 2 shown]
	v_add_f64 v[168:169], v[232:233], v[236:237]
	v_add_f64 v[48:49], v[48:49], v[16:17]
	;; [unrolled: 1-line block ×4, first 2 shown]
	v_mul_f64 v[172:173], v[106:107], s[30:31]
	v_mul_f64 v[198:199], v[106:107], s[28:29]
	v_add_f64 v[48:49], v[48:49], v[24:25]
	v_add_f64 v[50:51], v[50:51], v[26:27]
	;; [unrolled: 1-line block ×6, first 2 shown]
	buffer_store_dword v48, off, s[52:55], 0 offset:632 ; 4-byte Folded Spill
	s_nop 0
	buffer_store_dword v49, off, s[52:55], 0 offset:636 ; 4-byte Folded Spill
	buffer_store_dword v50, off, s[52:55], 0 offset:640 ; 4-byte Folded Spill
	;; [unrolled: 1-line block ×3, first 2 shown]
	v_add_f64 v[50:51], v[42:43], v[46:47]
	v_add_f64 v[42:43], v[42:43], -v[46:47]
	v_add_f64 v[48:49], v[40:41], v[44:45]
	v_add_f64 v[40:41], v[40:41], -v[44:45]
	v_mul_f64 v[52:53], v[50:51], s[2:3]
	v_mul_f64 v[44:45], v[42:43], s[42:43]
	;; [unrolled: 1-line block ×9, first 2 shown]
	v_fma_f64 v[46:47], v[48:49], s[2:3], v[44:45]
	v_fma_f64 v[44:45], v[48:49], s[2:3], -v[44:45]
	v_fma_f64 v[58:59], v[48:49], s[4:5], v[56:57]
	v_fma_f64 v[56:57], v[48:49], s[4:5], -v[56:57]
	;; [unrolled: 2-line block ×3, first 2 shown]
	v_fma_f64 v[74:75], v[48:49], s[16:17], v[72:73]
	v_mul_f64 v[76:77], v[50:51], s[16:17]
	v_fma_f64 v[72:73], v[48:49], s[16:17], -v[72:73]
	v_fma_f64 v[82:83], v[48:49], s[14:15], v[80:81]
	v_mul_f64 v[84:85], v[50:51], s[14:15]
	v_fma_f64 v[80:81], v[48:49], s[14:15], -v[80:81]
	;; [unrolled: 3-line block ×3, first 2 shown]
	v_add_f64 v[46:47], v[36:37], v[46:47]
	v_fma_f64 v[54:55], v[40:41], s[28:29], v[52:53]
	v_add_f64 v[44:45], v[36:37], v[44:45]
	v_fma_f64 v[52:53], v[40:41], s[42:43], v[52:53]
	v_add_f64 v[58:59], v[36:37], v[58:59]
	v_fma_f64 v[62:63], v[40:41], s[24:25], v[60:61]
	v_add_f64 v[56:57], v[36:37], v[56:57]
	v_fma_f64 v[60:61], v[40:41], s[34:35], v[60:61]
	v_add_f64 v[66:67], v[36:37], v[66:67]
	v_fma_f64 v[70:71], v[40:41], s[20:21], v[68:69]
	v_add_f64 v[64:65], v[36:37], v[64:65]
	v_fma_f64 v[68:69], v[40:41], s[22:23], v[68:69]
	v_add_f64 v[74:75], v[36:37], v[74:75]
	v_fma_f64 v[78:79], v[40:41], s[36:37], v[76:77]
	v_add_f64 v[72:73], v[36:37], v[72:73]
	v_fma_f64 v[76:77], v[40:41], s[26:27], v[76:77]
	v_add_f64 v[82:83], v[36:37], v[82:83]
	v_fma_f64 v[86:87], v[40:41], s[44:45], v[84:85]
	v_add_f64 v[80:81], v[36:37], v[80:81]
	v_fma_f64 v[84:85], v[40:41], s[30:31], v[84:85]
	v_add_f64 v[88:89], v[36:37], v[88:89]
	v_fma_f64 v[90:91], v[40:41], s[40:41], v[50:51]
	v_add_f64 v[36:37], v[36:37], v[42:43]
	v_fma_f64 v[40:41], v[40:41], s[38:39], v[50:51]
	v_add_f64 v[42:43], v[30:31], v[34:35]
	v_add_f64 v[30:31], v[30:31], -v[34:35]
	v_add_f64 v[54:55], v[38:39], v[54:55]
	v_add_f64 v[52:53], v[38:39], v[52:53]
	;; [unrolled: 1-line block ×13, first 2 shown]
	v_add_f64 v[28:29], v[28:29], -v[32:33]
	v_mul_f64 v[32:33], v[30:31], s[34:35]
	v_fma_f64 v[34:35], v[40:41], s[4:5], v[32:33]
	v_fma_f64 v[32:33], v[40:41], s[4:5], -v[32:33]
	v_add_f64 v[34:35], v[34:35], v[46:47]
	v_mul_f64 v[46:47], v[42:43], s[4:5]
	v_add_f64 v[32:33], v[32:33], v[44:45]
	v_fma_f64 v[48:49], v[28:29], s[24:25], v[46:47]
	v_fma_f64 v[44:45], v[28:29], s[34:35], v[46:47]
	v_mul_f64 v[46:47], v[30:31], s[26:27]
	v_add_f64 v[48:49], v[48:49], v[54:55]
	v_add_f64 v[44:45], v[44:45], v[52:53]
	v_fma_f64 v[50:51], v[40:41], s[16:17], v[46:47]
	v_mul_f64 v[52:53], v[42:43], s[16:17]
	v_fma_f64 v[46:47], v[40:41], s[16:17], -v[46:47]
	v_add_f64 v[50:51], v[50:51], v[58:59]
	v_fma_f64 v[54:55], v[28:29], s[36:37], v[52:53]
	v_add_f64 v[46:47], v[46:47], v[56:57]
	v_fma_f64 v[52:53], v[28:29], s[26:27], v[52:53]
	v_mul_f64 v[56:57], v[30:31], s[38:39]
	v_add_f64 v[54:55], v[54:55], v[62:63]
	v_add_f64 v[52:53], v[52:53], v[60:61]
	v_fma_f64 v[58:59], v[40:41], s[18:19], v[56:57]
	v_mul_f64 v[60:61], v[42:43], s[18:19]
	v_fma_f64 v[56:57], v[40:41], s[18:19], -v[56:57]
	v_add_f64 v[58:59], v[58:59], v[66:67]
	v_fma_f64 v[62:63], v[28:29], s[40:41], v[60:61]
	v_add_f64 v[56:57], v[56:57], v[64:65]
	;; [unrolled: 10-line block ×3, first 2 shown]
	v_fma_f64 v[68:69], v[28:29], s[44:45], v[68:69]
	v_mul_f64 v[72:73], v[30:31], s[20:21]
	v_mul_f64 v[30:31], v[30:31], s[28:29]
	v_add_f64 v[70:71], v[70:71], v[78:79]
	v_add_f64 v[68:69], v[68:69], v[76:77]
	v_fma_f64 v[74:75], v[40:41], s[12:13], v[72:73]
	v_mul_f64 v[76:77], v[42:43], s[12:13]
	v_mul_f64 v[42:43], v[42:43], s[2:3]
	v_fma_f64 v[72:73], v[40:41], s[12:13], -v[72:73]
	v_add_f64 v[74:75], v[74:75], v[82:83]
	v_fma_f64 v[78:79], v[28:29], s[22:23], v[76:77]
	v_fma_f64 v[76:77], v[28:29], s[20:21], v[76:77]
	;; [unrolled: 1-line block ×4, first 2 shown]
	v_add_f64 v[72:73], v[72:73], v[80:81]
	v_fma_f64 v[80:81], v[40:41], s[2:3], v[30:31]
	v_fma_f64 v[30:31], v[40:41], s[2:3], -v[30:31]
	v_add_f64 v[78:79], v[78:79], v[86:87]
	v_add_f64 v[76:77], v[76:77], v[84:85]
	;; [unrolled: 1-line block ×5, first 2 shown]
	v_add_f64 v[22:23], v[22:23], -v[26:27]
	v_add_f64 v[30:31], v[30:31], v[36:37]
	v_add_f64 v[36:37], v[20:21], v[24:25]
	v_add_f64 v[20:21], v[20:21], -v[24:25]
	v_add_f64 v[80:81], v[80:81], v[88:89]
	v_mul_f64 v[24:25], v[22:23], s[22:23]
	v_fma_f64 v[26:27], v[36:37], s[12:13], v[24:25]
	v_fma_f64 v[24:25], v[36:37], s[12:13], -v[24:25]
	v_add_f64 v[26:27], v[26:27], v[34:35]
	v_mul_f64 v[34:35], v[38:39], s[12:13]
	v_add_f64 v[24:25], v[24:25], v[32:33]
	v_fma_f64 v[40:41], v[20:21], s[20:21], v[34:35]
	v_fma_f64 v[32:33], v[20:21], s[22:23], v[34:35]
	v_mul_f64 v[34:35], v[22:23], s[38:39]
	v_add_f64 v[40:41], v[40:41], v[48:49]
	v_add_f64 v[32:33], v[32:33], v[44:45]
	v_fma_f64 v[42:43], v[36:37], s[18:19], v[34:35]
	v_fma_f64 v[34:35], v[36:37], s[18:19], -v[34:35]
	v_mul_f64 v[44:45], v[38:39], s[18:19]
	v_add_f64 v[42:43], v[42:43], v[50:51]
	v_add_f64 v[34:35], v[34:35], v[46:47]
	v_mul_f64 v[46:47], v[22:23], s[36:37]
	v_fma_f64 v[48:49], v[20:21], s[40:41], v[44:45]
	v_fma_f64 v[44:45], v[20:21], s[38:39], v[44:45]
	;; [unrolled: 1-line block ×3, first 2 shown]
	v_fma_f64 v[46:47], v[36:37], s[16:17], -v[46:47]
	v_add_f64 v[44:45], v[44:45], v[52:53]
	v_mul_f64 v[52:53], v[38:39], s[16:17]
	v_add_f64 v[48:49], v[48:49], v[54:55]
	v_add_f64 v[50:51], v[50:51], v[58:59]
	;; [unrolled: 1-line block ×3, first 2 shown]
	v_mul_f64 v[56:57], v[22:23], s[28:29]
	v_fma_f64 v[54:55], v[20:21], s[26:27], v[52:53]
	v_fma_f64 v[52:53], v[20:21], s[36:37], v[52:53]
	;; [unrolled: 1-line block ×3, first 2 shown]
	v_fma_f64 v[56:57], v[36:37], s[2:3], -v[56:57]
	v_add_f64 v[52:53], v[52:53], v[60:61]
	v_mul_f64 v[60:61], v[38:39], s[2:3]
	v_add_f64 v[54:55], v[54:55], v[62:63]
	v_add_f64 v[58:59], v[58:59], v[66:67]
	;; [unrolled: 1-line block ×3, first 2 shown]
	v_mul_f64 v[64:65], v[22:23], s[34:35]
	v_fma_f64 v[62:63], v[20:21], s[42:43], v[60:61]
	v_fma_f64 v[60:61], v[20:21], s[28:29], v[60:61]
	v_mul_f64 v[22:23], v[22:23], s[30:31]
	v_fma_f64 v[66:67], v[36:37], s[4:5], v[64:65]
	v_fma_f64 v[64:65], v[36:37], s[4:5], -v[64:65]
	v_add_f64 v[60:61], v[60:61], v[68:69]
	v_mul_f64 v[68:69], v[38:39], s[4:5]
	v_mul_f64 v[38:39], v[38:39], s[14:15]
	v_add_f64 v[62:63], v[62:63], v[70:71]
	v_add_f64 v[66:67], v[66:67], v[74:75]
	;; [unrolled: 1-line block ×3, first 2 shown]
	v_fma_f64 v[72:73], v[36:37], s[14:15], v[22:23]
	v_fma_f64 v[22:23], v[36:37], s[14:15], -v[22:23]
	v_fma_f64 v[70:71], v[20:21], s[24:25], v[68:69]
	v_fma_f64 v[68:69], v[20:21], s[34:35], v[68:69]
	;; [unrolled: 1-line block ×4, first 2 shown]
	v_add_f64 v[72:73], v[72:73], v[80:81]
	v_add_f64 v[22:23], v[22:23], v[30:31]
	;; [unrolled: 1-line block ×3, first 2 shown]
	v_add_f64 v[14:15], v[14:15], -v[18:19]
	v_add_f64 v[68:69], v[68:69], v[76:77]
	v_add_f64 v[20:21], v[20:21], v[28:29]
	;; [unrolled: 1-line block ×3, first 2 shown]
	v_add_f64 v[12:13], v[12:13], -v[16:17]
	v_add_f64 v[70:71], v[70:71], v[78:79]
	v_add_f64 v[74:75], v[74:75], v[82:83]
	v_mul_f64 v[38:39], v[30:31], s[14:15]
	v_mul_f64 v[16:17], v[14:15], s[26:27]
	v_add_f64 v[78:79], v[218:219], -v[162:163]
	v_add_f64 v[80:81], v[216:217], v[160:161]
	v_add_f64 v[82:83], v[218:219], v[162:163]
	v_fma_f64 v[18:19], v[28:29], s[16:17], v[16:17]
	v_fma_f64 v[16:17], v[28:29], s[16:17], -v[16:17]
	v_mul_f64 v[84:85], v[78:79], s[34:35]
	v_mul_f64 v[108:109], v[78:79], s[20:21]
	v_add_f64 v[18:19], v[18:19], v[26:27]
	v_mul_f64 v[26:27], v[30:31], s[16:17]
	v_add_f64 v[16:17], v[16:17], v[24:25]
	v_fma_f64 v[36:37], v[12:13], s[36:37], v[26:27]
	v_fma_f64 v[24:25], v[12:13], s[26:27], v[26:27]
	v_mul_f64 v[26:27], v[14:15], s[44:45]
	v_add_f64 v[36:37], v[36:37], v[40:41]
	v_add_f64 v[24:25], v[24:25], v[32:33]
	v_fma_f64 v[32:33], v[28:29], s[14:15], v[26:27]
	v_fma_f64 v[26:27], v[28:29], s[14:15], -v[26:27]
	v_fma_f64 v[40:41], v[12:13], s[30:31], v[38:39]
	v_add_f64 v[32:33], v[32:33], v[42:43]
	v_add_f64 v[26:27], v[26:27], v[34:35]
	v_fma_f64 v[34:35], v[12:13], s[44:45], v[38:39]
	v_mul_f64 v[38:39], v[14:15], s[28:29]
	v_add_f64 v[40:41], v[40:41], v[48:49]
	v_add_f64 v[34:35], v[34:35], v[44:45]
	v_fma_f64 v[42:43], v[28:29], s[2:3], v[38:39]
	v_fma_f64 v[38:39], v[28:29], s[2:3], -v[38:39]
	v_mul_f64 v[44:45], v[30:31], s[2:3]
	v_add_f64 v[42:43], v[42:43], v[50:51]
	v_add_f64 v[38:39], v[38:39], v[46:47]
	v_mul_f64 v[46:47], v[14:15], s[22:23]
	v_fma_f64 v[48:49], v[12:13], s[42:43], v[44:45]
	v_fma_f64 v[44:45], v[12:13], s[28:29], v[44:45]
	;; [unrolled: 1-line block ×3, first 2 shown]
	v_fma_f64 v[46:47], v[28:29], s[12:13], -v[46:47]
	v_add_f64 v[44:45], v[44:45], v[52:53]
	v_mul_f64 v[52:53], v[30:31], s[12:13]
	v_add_f64 v[48:49], v[48:49], v[54:55]
	v_add_f64 v[50:51], v[50:51], v[58:59]
	;; [unrolled: 1-line block ×3, first 2 shown]
	v_mul_f64 v[56:57], v[14:15], s[40:41]
	v_fma_f64 v[54:55], v[12:13], s[20:21], v[52:53]
	v_fma_f64 v[52:53], v[12:13], s[22:23], v[52:53]
	v_mul_f64 v[14:15], v[14:15], s[24:25]
	v_fma_f64 v[58:59], v[28:29], s[18:19], v[56:57]
	v_fma_f64 v[56:57], v[28:29], s[18:19], -v[56:57]
	v_add_f64 v[52:53], v[52:53], v[60:61]
	v_mul_f64 v[60:61], v[30:31], s[18:19]
	v_mul_f64 v[30:31], v[30:31], s[4:5]
	v_add_f64 v[54:55], v[54:55], v[62:63]
	v_add_f64 v[58:59], v[58:59], v[66:67]
	v_add_f64 v[56:57], v[56:57], v[64:65]
	v_fma_f64 v[64:65], v[28:29], s[4:5], v[14:15]
	v_fma_f64 v[14:15], v[28:29], s[4:5], -v[14:15]
	v_fma_f64 v[62:63], v[12:13], s[38:39], v[60:61]
	v_fma_f64 v[60:61], v[12:13], s[40:41], v[60:61]
	;; [unrolled: 1-line block ×4, first 2 shown]
	v_add_f64 v[64:65], v[64:65], v[72:73]
	v_add_f64 v[14:15], v[14:15], v[22:23]
	;; [unrolled: 1-line block ×3, first 2 shown]
	v_add_f64 v[6:7], v[6:7], -v[10:11]
	v_add_f64 v[60:61], v[60:61], v[68:69]
	v_add_f64 v[12:13], v[12:13], v[20:21]
	;; [unrolled: 1-line block ×3, first 2 shown]
	v_add_f64 v[4:5], v[4:5], -v[8:9]
	v_add_f64 v[62:63], v[62:63], v[70:71]
	v_add_f64 v[66:67], v[66:67], v[74:75]
	v_mul_f64 v[8:9], v[6:7], s[30:31]
	v_fma_f64 v[10:11], v[20:21], s[14:15], v[8:9]
	v_fma_f64 v[8:9], v[20:21], s[14:15], -v[8:9]
	v_add_f64 v[10:11], v[10:11], v[18:19]
	v_mul_f64 v[18:19], v[22:23], s[14:15]
	v_add_f64 v[8:9], v[8:9], v[16:17]
	v_fma_f64 v[28:29], v[4:5], s[44:45], v[18:19]
	v_fma_f64 v[16:17], v[4:5], s[30:31], v[18:19]
	v_mul_f64 v[18:19], v[6:7], s[20:21]
	v_add_f64 v[30:31], v[28:29], v[36:37]
	v_add_f64 v[16:17], v[16:17], v[24:25]
	v_fma_f64 v[24:25], v[20:21], s[12:13], v[18:19]
	v_fma_f64 v[18:19], v[20:21], s[12:13], -v[18:19]
	v_add_f64 v[32:33], v[24:25], v[32:33]
	v_mul_f64 v[24:25], v[22:23], s[12:13]
	v_add_f64 v[18:19], v[18:19], v[26:27]
	v_fma_f64 v[28:29], v[4:5], s[22:23], v[24:25]
	v_fma_f64 v[24:25], v[4:5], s[20:21], v[24:25]
	v_add_f64 v[40:41], v[28:29], v[40:41]
	v_add_f64 v[34:35], v[24:25], v[34:35]
	v_mul_f64 v[24:25], v[6:7], s[34:35]
	v_fma_f64 v[26:27], v[20:21], s[4:5], v[24:25]
	v_fma_f64 v[24:25], v[20:21], s[4:5], -v[24:25]
	v_add_f64 v[42:43], v[26:27], v[42:43]
	v_mul_f64 v[26:27], v[22:23], s[4:5]
	v_add_f64 v[68:69], v[24:25], v[38:39]
	v_fma_f64 v[24:25], v[4:5], s[34:35], v[26:27]
	v_fma_f64 v[28:29], v[4:5], s[24:25], v[26:27]
	v_add_f64 v[70:71], v[24:25], v[44:45]
	v_mul_f64 v[24:25], v[6:7], s[40:41]
	v_add_f64 v[48:49], v[28:29], v[48:49]
	v_fma_f64 v[26:27], v[20:21], s[18:19], v[24:25]
	v_fma_f64 v[24:25], v[20:21], s[18:19], -v[24:25]
	v_add_f64 v[50:51], v[26:27], v[50:51]
	v_mul_f64 v[26:27], v[22:23], s[18:19]
	v_add_f64 v[72:73], v[24:25], v[46:47]
	v_fma_f64 v[24:25], v[4:5], s[40:41], v[26:27]
	v_fma_f64 v[28:29], v[4:5], s[38:39], v[26:27]
	v_add_f64 v[74:75], v[24:25], v[52:53]
	v_mul_f64 v[24:25], v[6:7], s[28:29]
	v_mul_f64 v[6:7], v[6:7], s[26:27]
	v_add_f64 v[54:55], v[28:29], v[54:55]
	v_fma_f64 v[26:27], v[20:21], s[2:3], v[24:25]
	v_fma_f64 v[24:25], v[20:21], s[2:3], -v[24:25]
	v_add_f64 v[58:59], v[26:27], v[58:59]
	v_mul_f64 v[26:27], v[22:23], s[2:3]
	v_add_f64 v[56:57], v[24:25], v[56:57]
	v_mul_f64 v[22:23], v[22:23], s[16:17]
	v_fma_f64 v[24:25], v[4:5], s[28:29], v[26:27]
	v_fma_f64 v[28:29], v[4:5], s[42:43], v[26:27]
	v_add_f64 v[60:61], v[24:25], v[60:61]
	v_fma_f64 v[24:25], v[20:21], s[16:17], v[6:7]
	v_fma_f64 v[6:7], v[20:21], s[16:17], -v[6:7]
	v_add_f64 v[62:63], v[28:29], v[62:63]
	v_add_f64 v[64:65], v[24:25], v[64:65]
	v_fma_f64 v[24:25], v[4:5], s[36:37], v[22:23]
	v_add_f64 v[6:7], v[6:7], v[14:15]
	v_fma_f64 v[4:5], v[4:5], s[26:27], v[22:23]
	v_add_f64 v[14:15], v[254:255], v[2:3]
	v_add_f64 v[2:3], v[254:255], -v[2:3]
	v_add_f64 v[66:67], v[24:25], v[66:67]
	v_add_f64 v[4:5], v[4:5], v[12:13]
	;; [unrolled: 1-line block ×3, first 2 shown]
	v_mul_f64 v[20:21], v[2:3], s[38:39]
	v_add_f64 v[0:1], v[252:253], -v[0:1]
	v_fma_f64 v[22:23], v[12:13], s[18:19], v[20:21]
	v_fma_f64 v[20:21], v[12:13], s[18:19], -v[20:21]
	v_add_f64 v[28:29], v[22:23], v[10:11]
	v_mul_f64 v[10:11], v[14:15], s[18:19]
	v_add_f64 v[24:25], v[20:21], v[8:9]
	v_fma_f64 v[8:9], v[0:1], s[38:39], v[10:11]
	v_fma_f64 v[22:23], v[0:1], s[40:41], v[10:11]
	v_add_f64 v[26:27], v[8:9], v[16:17]
	v_mul_f64 v[8:9], v[2:3], s[28:29]
	v_add_f64 v[30:31], v[22:23], v[30:31]
	v_fma_f64 v[10:11], v[12:13], s[2:3], v[8:9]
	v_fma_f64 v[8:9], v[12:13], s[2:3], -v[8:9]
	v_add_f64 v[36:37], v[10:11], v[32:33]
	v_mul_f64 v[10:11], v[14:15], s[2:3]
	v_add_f64 v[32:33], v[8:9], v[18:19]
	v_fma_f64 v[8:9], v[0:1], s[28:29], v[10:11]
	v_fma_f64 v[16:17], v[0:1], s[42:43], v[10:11]
	v_add_f64 v[34:35], v[8:9], v[34:35]
	v_mul_f64 v[8:9], v[2:3], s[30:31]
	v_add_f64 v[38:39], v[16:17], v[40:41]
	;; [unrolled: 10-line block ×3, first 2 shown]
	v_fma_f64 v[10:11], v[12:13], s[4:5], v[8:9]
	v_fma_f64 v[8:9], v[12:13], s[4:5], -v[8:9]
	v_add_f64 v[52:53], v[10:11], v[50:51]
	v_mul_f64 v[10:11], v[14:15], s[4:5]
	v_add_f64 v[48:49], v[8:9], v[72:73]
	v_add_f64 v[72:73], v[246:247], v[189:190]
	v_fma_f64 v[8:9], v[0:1], s[24:25], v[10:11]
	v_fma_f64 v[16:17], v[0:1], s[34:35], v[10:11]
	v_mul_f64 v[70:71], v[72:73], s[18:19]
	v_add_f64 v[50:51], v[8:9], v[74:75]
	v_mul_f64 v[8:9], v[2:3], s[26:27]
	v_mul_f64 v[2:3], v[2:3], s[20:21]
	v_add_f64 v[54:55], v[16:17], v[54:55]
	v_add_f64 v[74:75], v[244:245], v[187:188]
	v_fma_f64 v[10:11], v[12:13], s[16:17], v[8:9]
	v_fma_f64 v[8:9], v[12:13], s[16:17], -v[8:9]
	v_add_f64 v[248:249], v[10:11], v[58:59]
	v_mul_f64 v[10:11], v[14:15], s[16:17]
	v_add_f64 v[56:57], v[8:9], v[56:57]
	v_fma_f64 v[8:9], v[0:1], s[26:27], v[10:11]
	v_fma_f64 v[16:17], v[0:1], s[36:37], v[10:11]
	v_add_f64 v[58:59], v[8:9], v[60:61]
	v_fma_f64 v[8:9], v[12:13], s[12:13], v[2:3]
	v_fma_f64 v[2:3], v[12:13], s[12:13], -v[2:3]
	v_add_f64 v[250:251], v[16:17], v[62:63]
	v_add_f64 v[60:61], v[8:9], v[64:65]
	v_mul_f64 v[8:9], v[14:15], s[12:13]
	v_add_f64 v[64:65], v[2:3], v[6:7]
	v_add_f64 v[2:3], v[246:247], -v[189:190]
	v_add_f64 v[190:191], v[232:233], -v[236:237]
	v_fma_f64 v[10:11], v[0:1], s[22:23], v[8:9]
	v_fma_f64 v[0:1], v[0:1], s[20:21], v[8:9]
	v_mul_f64 v[8:9], v[2:3], s[34:35]
	v_mul_f64 v[12:13], v[2:3], s[22:23]
	v_mul_f64 v[16:17], v[2:3], s[26:27]
	v_mul_f64 v[20:21], v[2:3], s[30:31]
	v_mul_f64 v[196:197], v[190:191], s[38:39]
	v_mul_f64 v[204:205], v[190:191], s[28:29]
	v_add_f64 v[62:63], v[10:11], v[66:67]
	v_add_f64 v[66:67], v[0:1], v[4:5]
	v_add_f64 v[0:1], v[244:245], -v[187:188]
	v_mul_f64 v[4:5], v[2:3], s[42:43]
	buffer_store_dword v4, off, s[52:55], 0 offset:752 ; 4-byte Folded Spill
	s_nop 0
	buffer_store_dword v5, off, s[52:55], 0 offset:756 ; 4-byte Folded Spill
	v_mul_f64 v[6:7], v[0:1], s[42:43]
	v_mul_f64 v[10:11], v[0:1], s[34:35]
	;; [unrolled: 1-line block ×5, first 2 shown]
	buffer_store_dword v6, off, s[52:55], 0 offset:760 ; 4-byte Folded Spill
	s_nop 0
	buffer_store_dword v7, off, s[52:55], 0 offset:764 ; 4-byte Folded Spill
	buffer_store_dword v8, off, s[52:55], 0 offset:768 ; 4-byte Folded Spill
	s_nop 0
	buffer_store_dword v9, off, s[52:55], 0 offset:772 ; 4-byte Folded Spill
	;; [unrolled: 3-line block ×10, first 2 shown]
	v_fma_f64 v[76:77], v[0:1], s[40:41], v[70:71]
	v_fma_f64 v[0:1], v[0:1], s[38:39], v[70:71]
	v_add_f64 v[70:71], v[216:217], -v[160:161]
	v_mul_f64 v[2:3], v[2:3], s[38:39]
	v_mul_f64 v[176:177], v[190:191], s[26:27]
	v_add_f64 v[76:77], v[242:243], v[76:77]
	v_add_f64 v[0:1], v[242:243], v[0:1]
	v_mul_f64 v[114:115], v[70:71], s[20:21]
	v_fma_f64 v[68:69], v[74:75], s[18:19], v[2:3]
	v_fma_f64 v[2:3], v[74:75], s[18:19], -v[2:3]
	v_add_f64 v[68:69], v[240:241], v[68:69]
	v_add_f64 v[2:3], v[240:241], v[2:3]
	v_fma_f64 v[4:5], v[74:75], s[2:3], v[4:5]
	v_add_f64 v[4:5], v[240:241], v[4:5]
	v_fma_f64 v[6:7], v[72:73], s[2:3], -v[6:7]
	v_fma_f64 v[8:9], v[74:75], s[4:5], v[8:9]
	v_fma_f64 v[10:11], v[72:73], s[4:5], -v[10:11]
	v_fma_f64 v[12:13], v[74:75], s[12:13], v[12:13]
	v_fma_f64 v[14:15], v[72:73], s[12:13], -v[14:15]
	v_fma_f64 v[16:17], v[74:75], s[16:17], v[16:17]
	v_fma_f64 v[18:19], v[72:73], s[16:17], -v[18:19]
	v_fma_f64 v[20:21], v[74:75], s[14:15], v[20:21]
	v_add_f64 v[6:7], v[242:243], v[6:7]
	v_fma_f64 v[84:85], v[80:81], s[4:5], v[84:85]
	v_add_f64 v[8:9], v[240:241], v[8:9]
	v_add_f64 v[10:11], v[242:243], v[10:11]
	v_add_f64 v[12:13], v[240:241], v[12:13]
	v_add_f64 v[14:15], v[242:243], v[14:15]
	v_add_f64 v[16:17], v[240:241], v[16:17]
	v_add_f64 v[18:19], v[242:243], v[18:19]
	v_add_f64 v[20:21], v[240:241], v[20:21]
	v_add_f64 v[4:5], v[84:85], v[4:5]
	v_mul_f64 v[84:85], v[70:71], s[34:35]
	buffer_store_dword v84, off, s[52:55], 0 offset:800 ; 4-byte Folded Spill
	s_nop 0
	buffer_store_dword v85, off, s[52:55], 0 offset:804 ; 4-byte Folded Spill
	v_fma_f64 v[22:23], v[72:73], s[14:15], -v[22:23]
	v_add_f64 v[22:23], v[242:243], v[22:23]
	v_fma_f64 v[84:85], v[82:83], s[4:5], -v[84:85]
	v_add_f64 v[6:7], v[84:85], v[6:7]
	v_mul_f64 v[84:85], v[78:79], s[26:27]
	buffer_store_dword v84, off, s[52:55], 0 offset:808 ; 4-byte Folded Spill
	s_nop 0
	buffer_store_dword v85, off, s[52:55], 0 offset:812 ; 4-byte Folded Spill
	v_fma_f64 v[84:85], v[80:81], s[16:17], v[84:85]
	v_add_f64 v[8:9], v[84:85], v[8:9]
	v_mul_f64 v[84:85], v[70:71], s[26:27]
	buffer_store_dword v84, off, s[52:55], 0 offset:824 ; 4-byte Folded Spill
	s_nop 0
	buffer_store_dword v85, off, s[52:55], 0 offset:828 ; 4-byte Folded Spill
	v_fma_f64 v[84:85], v[82:83], s[16:17], -v[84:85]
	v_add_f64 v[10:11], v[84:85], v[10:11]
	v_mul_f64 v[84:85], v[78:79], s[38:39]
	buffer_store_dword v84, off, s[52:55], 0 offset:832 ; 4-byte Folded Spill
	s_nop 0
	buffer_store_dword v85, off, s[52:55], 0 offset:836 ; 4-byte Folded Spill
	v_fma_f64 v[84:85], v[80:81], s[18:19], v[84:85]
	v_add_f64 v[12:13], v[84:85], v[12:13]
	v_mul_f64 v[84:85], v[70:71], s[38:39]
	buffer_store_dword v84, off, s[52:55], 0 offset:840 ; 4-byte Folded Spill
	s_nop 0
	buffer_store_dword v85, off, s[52:55], 0 offset:844 ; 4-byte Folded Spill
	v_fma_f64 v[84:85], v[82:83], s[18:19], -v[84:85]
	v_add_f64 v[14:15], v[84:85], v[14:15]
	v_mul_f64 v[84:85], v[78:79], s[44:45]
	buffer_store_dword v84, off, s[52:55], 0 offset:928 ; 4-byte Folded Spill
	s_nop 0
	buffer_store_dword v85, off, s[52:55], 0 offset:932 ; 4-byte Folded Spill
	v_mul_f64 v[78:79], v[78:79], s[28:29]
	v_fma_f64 v[84:85], v[80:81], s[14:15], v[84:85]
	v_add_f64 v[16:17], v[84:85], v[16:17]
	v_mul_f64 v[84:85], v[70:71], s[44:45]
	buffer_store_dword v84, off, s[52:55], 0 offset:952 ; 4-byte Folded Spill
	s_nop 0
	buffer_store_dword v85, off, s[52:55], 0 offset:956 ; 4-byte Folded Spill
	v_fma_f64 v[84:85], v[82:83], s[14:15], -v[84:85]
	v_add_f64 v[18:19], v[84:85], v[18:19]
	v_fma_f64 v[84:85], v[80:81], s[12:13], v[108:109]
	v_add_f64 v[20:21], v[84:85], v[20:21]
	v_fma_f64 v[84:85], v[82:83], s[12:13], -v[114:115]
	v_add_f64 v[22:23], v[84:85], v[22:23]
	v_fma_f64 v[84:85], v[80:81], s[2:3], v[78:79]
	v_fma_f64 v[78:79], v[80:81], s[2:3], -v[78:79]
	v_add_f64 v[68:69], v[84:85], v[68:69]
	v_mul_f64 v[84:85], v[82:83], s[2:3]
	v_add_f64 v[2:3], v[78:79], v[2:3]
	v_add_f64 v[78:79], v[220:221], -v[200:201]
	v_fma_f64 v[86:87], v[70:71], s[42:43], v[84:85]
	v_fma_f64 v[70:71], v[70:71], s[28:29], v[84:85]
	v_add_f64 v[84:85], v[222:223], -v[202:203]
	v_mul_f64 v[120:121], v[78:79], s[28:29]
	v_mul_f64 v[136:137], v[78:79], s[34:35]
	v_add_f64 v[76:77], v[86:87], v[76:77]
	v_add_f64 v[0:1], v[70:71], v[0:1]
	v_mul_f64 v[70:71], v[84:85], s[22:23]
	buffer_store_dword v70, off, s[52:55], 0 offset:856 ; 4-byte Folded Spill
	s_nop 0
	buffer_store_dword v71, off, s[52:55], 0 offset:860 ; 4-byte Folded Spill
	v_mul_f64 v[128:129], v[84:85], s[34:35]
	v_fma_f64 v[70:71], v[100:101], s[12:13], v[70:71]
	v_add_f64 v[4:5], v[70:71], v[4:5]
	v_mul_f64 v[70:71], v[78:79], s[22:23]
	buffer_store_dword v70, off, s[52:55], 0 offset:872 ; 4-byte Folded Spill
	s_nop 0
	buffer_store_dword v71, off, s[52:55], 0 offset:876 ; 4-byte Folded Spill
	v_fma_f64 v[70:71], v[102:103], s[12:13], -v[70:71]
	v_add_f64 v[6:7], v[70:71], v[6:7]
	v_mul_f64 v[70:71], v[84:85], s[38:39]
	buffer_store_dword v70, off, s[52:55], 0 offset:880 ; 4-byte Folded Spill
	s_nop 0
	buffer_store_dword v71, off, s[52:55], 0 offset:884 ; 4-byte Folded Spill
	v_fma_f64 v[70:71], v[100:101], s[18:19], v[70:71]
	v_add_f64 v[8:9], v[70:71], v[8:9]
	v_mul_f64 v[70:71], v[78:79], s[38:39]
	buffer_store_dword v70, off, s[52:55], 0 offset:896 ; 4-byte Folded Spill
	s_nop 0
	buffer_store_dword v71, off, s[52:55], 0 offset:900 ; 4-byte Folded Spill
	v_fma_f64 v[70:71], v[102:103], s[18:19], -v[70:71]
	v_add_f64 v[10:11], v[70:71], v[10:11]
	v_mul_f64 v[70:71], v[84:85], s[36:37]
	buffer_store_dword v70, off, s[52:55], 0 offset:904 ; 4-byte Folded Spill
	s_nop 0
	buffer_store_dword v71, off, s[52:55], 0 offset:908 ; 4-byte Folded Spill
	v_fma_f64 v[70:71], v[100:101], s[16:17], v[70:71]
	v_add_f64 v[12:13], v[70:71], v[12:13]
	v_mul_f64 v[70:71], v[78:79], s[36:37]
	buffer_store_dword v70, off, s[52:55], 0 offset:912 ; 4-byte Folded Spill
	s_nop 0
	buffer_store_dword v71, off, s[52:55], 0 offset:916 ; 4-byte Folded Spill
	v_fma_f64 v[70:71], v[102:103], s[16:17], -v[70:71]
	v_add_f64 v[14:15], v[70:71], v[14:15]
	v_mul_f64 v[70:71], v[84:85], s[28:29]
	v_mul_f64 v[84:85], v[84:85], s[30:31]
	v_fma_f64 v[86:87], v[100:101], s[2:3], v[70:71]
	v_add_f64 v[16:17], v[86:87], v[16:17]
	v_fma_f64 v[86:87], v[102:103], s[2:3], -v[120:121]
	v_add_f64 v[18:19], v[86:87], v[18:19]
	v_fma_f64 v[86:87], v[100:101], s[4:5], v[128:129]
	v_add_f64 v[20:21], v[86:87], v[20:21]
	v_fma_f64 v[86:87], v[102:103], s[4:5], -v[136:137]
	v_add_f64 v[22:23], v[86:87], v[22:23]
	v_fma_f64 v[86:87], v[100:101], s[14:15], v[84:85]
	v_fma_f64 v[84:85], v[100:101], s[14:15], -v[84:85]
	v_add_f64 v[88:89], v[86:87], v[68:69]
	v_mul_f64 v[68:69], v[102:103], s[14:15]
	v_add_f64 v[2:3], v[84:85], v[2:3]
	v_add_f64 v[84:85], v[226:227], -v[166:167]
	v_fma_f64 v[86:87], v[78:79], s[44:45], v[68:69]
	v_fma_f64 v[68:69], v[78:79], s[30:31], v[68:69]
	v_add_f64 v[78:79], v[224:225], -v[164:165]
	v_mul_f64 v[138:139], v[84:85], s[22:23]
	v_add_f64 v[76:77], v[86:87], v[76:77]
	v_add_f64 v[0:1], v[68:69], v[0:1]
	v_mul_f64 v[68:69], v[84:85], s[26:27]
	buffer_store_dword v68, off, s[52:55], 0 offset:936 ; 4-byte Folded Spill
	s_nop 0
	buffer_store_dword v69, off, s[52:55], 0 offset:940 ; 4-byte Folded Spill
	v_mul_f64 v[110:111], v[78:79], s[44:45]
	v_mul_f64 v[112:113], v[78:79], s[28:29]
	;; [unrolled: 1-line block ×4, first 2 shown]
	v_fma_f64 v[68:69], v[116:117], s[16:17], v[68:69]
	v_add_f64 v[4:5], v[68:69], v[4:5]
	v_mul_f64 v[68:69], v[78:79], s[26:27]
	buffer_store_dword v68, off, s[52:55], 0 offset:944 ; 4-byte Folded Spill
	s_nop 0
	buffer_store_dword v69, off, s[52:55], 0 offset:948 ; 4-byte Folded Spill
	v_fma_f64 v[68:69], v[118:119], s[16:17], -v[68:69]
	v_add_f64 v[6:7], v[68:69], v[6:7]
	v_mul_f64 v[68:69], v[84:85], s[44:45]
	buffer_store_dword v68, off, s[52:55], 0 offset:960 ; 4-byte Folded Spill
	s_nop 0
	buffer_store_dword v69, off, s[52:55], 0 offset:964 ; 4-byte Folded Spill
	s_waitcnt vmcnt(0)
	s_barrier
	v_fma_f64 v[68:69], v[116:117], s[14:15], v[68:69]
	v_add_f64 v[8:9], v[68:69], v[8:9]
	v_fma_f64 v[68:69], v[118:119], s[14:15], -v[110:111]
	v_add_f64 v[10:11], v[68:69], v[10:11]
	v_mul_f64 v[68:69], v[84:85], s[28:29]
	v_fma_f64 v[86:87], v[116:117], s[2:3], v[68:69]
	v_add_f64 v[12:13], v[86:87], v[12:13]
	v_fma_f64 v[86:87], v[118:119], s[2:3], -v[112:113]
	v_add_f64 v[14:15], v[86:87], v[14:15]
	v_fma_f64 v[86:87], v[116:117], s[12:13], v[138:139]
	v_add_f64 v[16:17], v[86:87], v[16:17]
	v_fma_f64 v[86:87], v[118:119], s[12:13], -v[98:99]
	v_add_f64 v[18:19], v[86:87], v[18:19]
	v_mul_f64 v[86:87], v[84:85], s[40:41]
	v_mul_f64 v[84:85], v[84:85], s[24:25]
	v_fma_f64 v[90:91], v[116:117], s[18:19], v[86:87]
	v_add_f64 v[20:21], v[90:91], v[20:21]
	v_fma_f64 v[90:91], v[118:119], s[18:19], -v[174:175]
	v_add_f64 v[22:23], v[90:91], v[22:23]
	v_fma_f64 v[90:91], v[116:117], s[4:5], v[84:85]
	v_fma_f64 v[84:85], v[116:117], s[4:5], -v[84:85]
	v_add_f64 v[90:91], v[90:91], v[88:89]
	v_mul_f64 v[88:89], v[118:119], s[4:5]
	v_add_f64 v[2:3], v[84:85], v[2:3]
	v_add_f64 v[84:85], v[230:231], -v[210:211]
	v_fma_f64 v[92:93], v[78:79], s[34:35], v[88:89]
	v_fma_f64 v[78:79], v[78:79], s[24:25], v[88:89]
	v_mul_f64 v[122:123], v[84:85], s[30:31]
	v_mul_f64 v[126:127], v[84:85], s[20:21]
	;; [unrolled: 1-line block ×4, first 2 shown]
	v_add_f64 v[76:77], v[92:93], v[76:77]
	v_add_f64 v[0:1], v[78:79], v[0:1]
	v_add_f64 v[78:79], v[228:229], -v[208:209]
	v_fma_f64 v[88:89], v[142:143], s[14:15], v[122:123]
	v_mul_f64 v[124:125], v[78:79], s[30:31]
	v_add_f64 v[4:5], v[88:89], v[4:5]
	v_mul_f64 v[130:131], v[78:79], s[20:21]
	v_mul_f64 v[134:135], v[78:79], s[34:35]
	v_fma_f64 v[88:89], v[140:141], s[14:15], -v[124:125]
	v_add_f64 v[6:7], v[88:89], v[6:7]
	v_fma_f64 v[88:89], v[142:143], s[12:13], v[126:127]
	v_add_f64 v[8:9], v[88:89], v[8:9]
	v_fma_f64 v[88:89], v[140:141], s[12:13], -v[130:131]
	v_add_f64 v[10:11], v[88:89], v[10:11]
	v_fma_f64 v[88:89], v[142:143], s[4:5], v[132:133]
	v_add_f64 v[12:13], v[88:89], v[12:13]
	v_fma_f64 v[88:89], v[140:141], s[4:5], -v[134:135]
	v_add_f64 v[14:15], v[88:89], v[14:15]
	v_fma_f64 v[88:89], v[142:143], s[18:19], v[206:207]
	v_add_f64 v[16:17], v[88:89], v[16:17]
	v_mul_f64 v[88:89], v[78:79], s[40:41]
	v_fma_f64 v[92:93], v[140:141], s[18:19], -v[88:89]
	v_add_f64 v[18:19], v[92:93], v[18:19]
	v_mul_f64 v[92:93], v[84:85], s[28:29]
	v_mul_f64 v[84:85], v[84:85], s[26:27]
	v_fma_f64 v[94:95], v[142:143], s[2:3], v[92:93]
	v_add_f64 v[20:21], v[94:95], v[20:21]
	v_mul_f64 v[94:95], v[78:79], s[28:29]
	v_fma_f64 v[104:105], v[140:141], s[2:3], -v[94:95]
	v_add_f64 v[22:23], v[104:105], v[22:23]
	v_fma_f64 v[104:105], v[142:143], s[16:17], v[84:85]
	v_add_f64 v[182:183], v[104:105], v[90:91]
	v_mul_f64 v[90:91], v[140:141], s[16:17]
	v_fma_f64 v[104:105], v[78:79], s[36:37], v[90:91]
	v_add_f64 v[184:185], v[104:105], v[76:77]
	v_fma_f64 v[76:77], v[142:143], s[16:17], -v[84:85]
	v_mul_f64 v[84:85], v[106:107], s[38:39]
	v_mul_f64 v[104:105], v[106:107], s[26:27]
	v_add_f64 v[186:187], v[76:77], v[2:3]
	v_fma_f64 v[2:3], v[78:79], s[26:27], v[90:91]
	v_mul_f64 v[90:91], v[190:191], s[30:31]
	v_mul_f64 v[76:77], v[106:107], s[24:25]
	;; [unrolled: 1-line block ×3, first 2 shown]
	v_add_f64 v[188:189], v[2:3], v[0:1]
	v_fma_f64 v[0:1], v[168:169], s[18:19], v[84:85]
	v_fma_f64 v[2:3], v[170:171], s[2:3], -v[204:205]
	v_add_f64 v[252:253], v[0:1], v[4:5]
	v_fma_f64 v[0:1], v[170:171], s[18:19], -v[196:197]
	v_fma_f64 v[4:5], v[168:169], s[14:15], v[172:173]
	v_add_f64 v[2:3], v[2:3], v[10:11]
	v_fma_f64 v[10:11], v[170:171], s[4:5], -v[78:79]
	v_add_f64 v[254:255], v[0:1], v[6:7]
	v_fma_f64 v[6:7], v[170:171], s[14:15], -v[90:91]
	v_fma_f64 v[0:1], v[168:169], s[2:3], v[198:199]
	v_add_f64 v[4:5], v[4:5], v[12:13]
	v_fma_f64 v[12:13], v[168:169], s[16:17], v[104:105]
	v_add_f64 v[10:11], v[10:11], v[18:19]
	v_add_f64 v[6:7], v[6:7], v[14:15]
	v_fma_f64 v[14:15], v[170:171], s[16:17], -v[176:177]
	v_add_f64 v[0:1], v[0:1], v[8:9]
	v_fma_f64 v[8:9], v[168:169], s[4:5], v[76:77]
	v_add_f64 v[12:13], v[12:13], v[20:21]
	v_mul_f64 v[20:21], v[106:107], s[20:21]
	v_add_f64 v[14:15], v[14:15], v[22:23]
	v_mul_f64 v[22:23], v[170:171], s[12:13]
	v_add_f64 v[8:9], v[8:9], v[16:17]
	v_fma_f64 v[16:17], v[168:169], s[12:13], v[20:21]
	v_fma_f64 v[20:21], v[168:169], s[12:13], -v[20:21]
	v_fma_f64 v[18:19], v[190:191], s[22:23], v[22:23]
	v_fma_f64 v[22:23], v[190:191], s[20:21], v[22:23]
	v_add_f64 v[16:17], v[16:17], v[182:183]
	v_add_f64 v[20:21], v[20:21], v[186:187]
	v_add_f64 v[18:19], v[18:19], v[184:185]
	buffer_load_dword v182, off, s[52:55], 0 offset:632 ; 4-byte Folded Reload
	buffer_load_dword v183, off, s[52:55], 0 offset:636 ; 4-byte Folded Reload
	;; [unrolled: 1-line block ×4, first 2 shown]
	v_add_f64 v[22:23], v[22:23], v[188:189]
	s_waitcnt vmcnt(0)
	ds_write_b128 v179, v[182:185]
	ds_write_b128 v179, v[28:31] offset:16
	ds_write_b128 v179, v[36:39] offset:32
	;; [unrolled: 1-line block ×12, first 2 shown]
	s_and_saveexec_b64 s[20:21], vcc
	s_cbranch_execz .LBB0_17
; %bb.16:
	buffer_load_dword v30, off, s[52:55], 0 offset:920 ; 4-byte Folded Reload
	buffer_load_dword v31, off, s[52:55], 0 offset:924 ; 4-byte Folded Reload
	;; [unrolled: 1-line block ×4, first 2 shown]
	v_mul_f64 v[24:25], v[72:73], s[14:15]
	v_mul_f64 v[26:27], v[82:83], s[12:13]
	;; [unrolled: 1-line block ×9, first 2 shown]
	v_add_f64 v[26:27], v[114:115], v[26:27]
	v_add_f64 v[28:29], v[136:137], v[28:29]
	v_mul_f64 v[38:39], v[72:73], s[4:5]
	v_add_f64 v[46:47], v[174:175], v[46:47]
	v_mul_f64 v[44:45], v[72:73], s[12:13]
	;; [unrolled: 2-line block ×3, first 2 shown]
	v_add_f64 v[52:53], v[52:53], -v[104:105]
	buffer_load_dword v72, off, s[52:55], 0 offset:864 ; 4-byte Folded Reload
	buffer_load_dword v73, off, s[52:55], 0 offset:868 ; 4-byte Folded Reload
	v_mul_f64 v[40:41], v[74:75], s[12:13]
	v_mul_f64 v[48:49], v[74:75], s[16:17]
	;; [unrolled: 1-line block ×14, first 2 shown]
	v_add_f64 v[114:115], v[114:115], -v[206:207]
	s_waitcnt vmcnt(4)
	v_add_f64 v[24:25], v[30:31], v[24:25]
	s_waitcnt vmcnt(2)
	v_add_f64 v[50:51], v[50:51], -v[58:59]
	v_mul_f64 v[58:59], v[100:101], s[4:5]
	v_mul_f64 v[30:31], v[170:171], s[16:17]
	v_add_f64 v[24:25], v[242:243], v[24:25]
	v_add_f64 v[50:51], v[240:241], v[50:51]
	v_add_f64 v[58:59], v[58:59], -v[128:129]
	v_add_f64 v[30:31], v[176:177], v[30:31]
	v_mul_f64 v[128:129], v[170:171], s[2:3]
	v_add_f64 v[24:25], v[26:27], v[24:25]
	v_mul_f64 v[26:27], v[142:143], s[2:3]
	s_waitcnt vmcnt(0)
	v_add_f64 v[54:55], v[72:73], v[54:55]
	v_mul_f64 v[72:73], v[82:83], s[18:19]
	v_add_f64 v[24:25], v[28:29], v[24:25]
	v_add_f64 v[28:29], v[56:57], -v[108:109]
	v_add_f64 v[26:27], v[26:27], -v[92:93]
	v_mul_f64 v[56:57], v[82:83], s[16:17]
	v_mul_f64 v[82:83], v[100:101], s[18:19]
	;; [unrolled: 1-line block ×3, first 2 shown]
	v_add_f64 v[54:55], v[242:243], v[54:55]
	v_add_f64 v[24:25], v[46:47], v[24:25]
	v_mul_f64 v[46:47], v[116:117], s[18:19]
	v_add_f64 v[28:29], v[28:29], v[50:51]
	v_mul_f64 v[50:51], v[100:101], s[12:13]
	v_add_f64 v[24:25], v[42:43], v[24:25]
	v_add_f64 v[46:47], v[46:47], -v[86:87]
	v_add_f64 v[28:29], v[58:59], v[28:29]
	buffer_load_dword v86, off, s[52:55], 0 offset:952 ; 4-byte Folded Reload
	buffer_load_dword v87, off, s[52:55], 0 offset:956 ; 4-byte Folded Reload
	;; [unrolled: 1-line block ×6, first 2 shown]
	v_mul_f64 v[58:59], v[102:103], s[18:19]
	v_mul_f64 v[42:43], v[102:103], s[12:13]
	v_add_f64 v[28:29], v[46:47], v[28:29]
	v_mul_f64 v[46:47], v[116:117], s[14:15]
	v_add_f64 v[28:29], v[26:27], v[28:29]
	v_mul_f64 v[26:27], v[168:169], s[4:5]
	v_add_f64 v[76:77], v[26:27], -v[76:77]
	v_add_f64 v[26:27], v[30:31], v[24:25]
	buffer_load_dword v24, off, s[52:55], 0 offset:816 ; 4-byte Folded Reload
	buffer_load_dword v25, off, s[52:55], 0 offset:820 ; 4-byte Folded Reload
	s_waitcnt vmcnt(6)
	v_add_f64 v[74:75], v[86:87], v[74:75]
	s_waitcnt vmcnt(4)
	v_add_f64 v[48:49], v[48:49], -v[92:93]
	v_mul_f64 v[92:93], v[100:101], s[16:17]
	v_mul_f64 v[100:101], v[100:101], s[2:3]
	s_waitcnt vmcnt(2)
	v_add_f64 v[80:81], v[80:81], -v[104:105]
	v_mul_f64 v[86:87], v[102:103], s[2:3]
	v_mul_f64 v[102:103], v[118:119], s[12:13]
	;; [unrolled: 1-line block ×3, first 2 shown]
	v_add_f64 v[54:55], v[74:75], v[54:55]
	v_add_f64 v[48:49], v[240:241], v[48:49]
	v_mul_f64 v[74:75], v[116:117], s[16:17]
	v_add_f64 v[70:71], v[100:101], -v[70:71]
	v_mul_f64 v[100:101], v[116:117], s[12:13]
	v_add_f64 v[86:87], v[120:121], v[86:87]
	v_mul_f64 v[120:121], v[140:141], s[4:5]
	v_mul_f64 v[116:117], v[140:141], s[12:13]
	v_add_f64 v[98:99], v[98:99], v[102:103]
	v_add_f64 v[48:49], v[80:81], v[48:49]
	v_mul_f64 v[80:81], v[118:119], s[14:15]
	v_mul_f64 v[118:119], v[142:143], s[4:5]
	v_add_f64 v[100:101], v[100:101], -v[138:139]
	v_mul_f64 v[102:103], v[140:141], s[18:19]
	v_add_f64 v[54:55], v[86:87], v[54:55]
	v_mul_f64 v[86:87], v[142:143], s[14:15]
	v_mul_f64 v[138:139], v[170:171], s[14:15]
	v_add_f64 v[48:49], v[70:71], v[48:49]
	s_waitcnt vmcnt(0)
	v_add_f64 v[44:45], v[24:25], v[44:45]
	v_add_f64 v[24:25], v[52:53], v[28:29]
	buffer_load_dword v28, off, s[52:55], 0 offset:784 ; 4-byte Folded Reload
	buffer_load_dword v29, off, s[52:55], 0 offset:788 ; 4-byte Folded Reload
	v_add_f64 v[88:89], v[88:89], v[102:103]
	v_add_f64 v[54:55], v[98:99], v[54:55]
	v_mul_f64 v[98:99], v[170:171], s[4:5]
	v_add_f64 v[52:53], v[242:243], v[246:247]
	v_add_f64 v[48:49], v[100:101], v[48:49]
	;; [unrolled: 1-line block ×3, first 2 shown]
	v_mul_f64 v[70:71], v[142:143], s[12:13]
	v_mul_f64 v[102:103], v[140:141], s[14:15]
	;; [unrolled: 1-line block ×3, first 2 shown]
	v_add_f64 v[54:55], v[88:89], v[54:55]
	v_add_f64 v[78:79], v[78:79], v[98:99]
	;; [unrolled: 1-line block ×4, first 2 shown]
	v_mul_f64 v[98:99], v[170:171], s[18:19]
	v_mul_f64 v[88:89], v[168:169], s[2:3]
	v_add_f64 v[30:31], v[78:79], v[54:55]
	v_add_f64 v[54:55], v[240:241], v[244:245]
	;; [unrolled: 1-line block ×11, first 2 shown]
	s_waitcnt vmcnt(0)
	v_add_f64 v[40:41], v[40:41], -v[28:29]
	buffer_load_dword v28, off, s[52:55], 0 offset:840 ; 4-byte Folded Reload
	buffer_load_dword v29, off, s[52:55], 0 offset:844 ; 4-byte Folded Reload
	v_add_f64 v[40:41], v[240:241], v[40:41]
	s_waitcnt vmcnt(0)
	v_add_f64 v[72:73], v[28:29], v[72:73]
	v_add_f64 v[28:29], v[76:77], v[48:49]
	buffer_load_dword v48, off, s[52:55], 0 offset:776 ; 4-byte Folded Reload
	buffer_load_dword v49, off, s[52:55], 0 offset:780 ; 4-byte Folded Reload
	v_add_f64 v[44:45], v[72:73], v[44:45]
	s_waitcnt vmcnt(0)
	v_add_f64 v[38:39], v[48:49], v[38:39]
	buffer_load_dword v48, off, s[52:55], 0 offset:832 ; 4-byte Folded Reload
	buffer_load_dword v49, off, s[52:55], 0 offset:836 ; 4-byte Folded Reload
	v_add_f64 v[38:39], v[242:243], v[38:39]
	s_waitcnt vmcnt(0)
	v_add_f64 v[48:49], v[66:67], -v[48:49]
	buffer_load_dword v66, off, s[52:55], 0 offset:912 ; 4-byte Folded Reload
	buffer_load_dword v67, off, s[52:55], 0 offset:916 ; 4-byte Folded Reload
	;; [unrolled: 1-line block ×4, first 2 shown]
	v_add_f64 v[40:41], v[48:49], v[40:41]
	v_add_f64 v[48:49], v[112:113], v[108:109]
	s_waitcnt vmcnt(2)
	v_add_f64 v[66:67], v[66:67], v[94:95]
	s_waitcnt vmcnt(0)
	v_add_f64 v[56:57], v[72:73], v[56:57]
	buffer_load_dword v72, off, s[52:55], 0 offset:904 ; 4-byte Folded Reload
	buffer_load_dword v73, off, s[52:55], 0 offset:908 ; 4-byte Folded Reload
	v_add_f64 v[44:45], v[66:67], v[44:45]
	buffer_load_dword v66, off, s[52:55], 0 offset:896 ; 4-byte Folded Reload
	buffer_load_dword v67, off, s[52:55], 0 offset:900 ; 4-byte Folded Reload
	v_add_f64 v[38:39], v[56:57], v[38:39]
	v_add_f64 v[56:57], v[106:107], -v[68:69]
	v_add_f64 v[44:45], v[48:49], v[44:45]
	v_add_f64 v[48:49], v[110:111], v[80:81]
	s_waitcnt vmcnt(2)
	v_add_f64 v[72:73], v[92:93], -v[72:73]
	s_waitcnt vmcnt(0)
	v_add_f64 v[58:59], v[66:67], v[58:59]
	v_add_f64 v[40:41], v[72:73], v[40:41]
	;; [unrolled: 1-line block ×4, first 2 shown]
	v_add_f64 v[58:59], v[118:119], -v[132:133]
	v_add_f64 v[40:41], v[56:57], v[40:41]
	v_add_f64 v[44:45], v[66:67], v[44:45]
	;; [unrolled: 1-line block ×5, first 2 shown]
	v_add_f64 v[48:49], v[136:137], -v[172:173]
	v_add_f64 v[40:41], v[58:59], v[40:41]
	buffer_load_dword v58, off, s[52:55], 0 offset:768 ; 4-byte Folded Reload
	buffer_load_dword v59, off, s[52:55], 0 offset:772 ; 4-byte Folded Reload
	;; [unrolled: 1-line block ×4, first 2 shown]
	v_add_f64 v[66:67], v[66:67], v[38:39]
	buffer_load_dword v38, off, s[52:55], 0 offset:752 ; 4-byte Folded Reload
	buffer_load_dword v39, off, s[52:55], 0 offset:756 ; 4-byte Folded Reload
	s_waitcnt vmcnt(4)
	v_add_f64 v[36:37], v[36:37], -v[58:59]
	s_waitcnt vmcnt(2)
	v_add_f64 v[34:35], v[68:69], v[34:35]
	v_add_f64 v[58:59], v[204:205], v[128:129]
	s_waitcnt vmcnt(0)
	v_add_f64 v[32:33], v[32:33], -v[38:39]
	v_add_f64 v[38:39], v[52:53], v[238:239]
	v_add_f64 v[52:53], v[54:55], v[236:237]
	buffer_load_dword v54, off, s[52:55], 0 offset:808 ; 4-byte Folded Reload
	buffer_load_dword v55, off, s[52:55], 0 offset:812 ; 4-byte Folded Reload
	v_add_f64 v[36:37], v[240:241], v[36:37]
	v_add_f64 v[34:35], v[242:243], v[34:35]
	;; [unrolled: 1-line block ×9, first 2 shown]
	s_waitcnt vmcnt(0)
	v_add_f64 v[54:55], v[64:65], -v[54:55]
	buffer_load_dword v64, off, s[52:55], 0 offset:800 ; 4-byte Folded Reload
	buffer_load_dword v65, off, s[52:55], 0 offset:804 ; 4-byte Folded Reload
	v_add_f64 v[36:37], v[54:55], v[36:37]
	s_waitcnt vmcnt(0)
	v_add_f64 v[62:63], v[64:65], v[62:63]
	buffer_load_dword v64, off, s[52:55], 0 offset:792 ; 4-byte Folded Reload
	buffer_load_dword v65, off, s[52:55], 0 offset:796 ; 4-byte Folded Reload
	v_add_f64 v[34:35], v[62:63], v[34:35]
	v_add_f64 v[62:63], v[100:101], -v[84:85]
	s_waitcnt vmcnt(0)
	v_add_f64 v[60:61], v[60:61], -v[64:65]
	buffer_load_dword v64, off, s[52:55], 0 offset:880 ; 4-byte Folded Reload
	buffer_load_dword v65, off, s[52:55], 0 offset:884 ; 4-byte Folded Reload
	;; [unrolled: 1-line block ×4, first 2 shown]
	v_add_f64 v[32:33], v[60:61], v[32:33]
	v_add_f64 v[60:61], v[196:197], v[98:99]
	s_waitcnt vmcnt(2)
	v_add_f64 v[64:65], v[82:83], -v[64:65]
	s_waitcnt vmcnt(0)
	v_add_f64 v[42:43], v[54:55], v[42:43]
	buffer_load_dword v54, off, s[52:55], 0 offset:856 ; 4-byte Folded Reload
	buffer_load_dword v55, off, s[52:55], 0 offset:860 ; 4-byte Folded Reload
	v_add_f64 v[36:37], v[64:65], v[36:37]
	v_add_f64 v[34:35], v[42:43], v[34:35]
	s_waitcnt vmcnt(0)
	v_add_f64 v[50:51], v[50:51], -v[54:55]
	buffer_load_dword v54, off, s[52:55], 0 offset:960 ; 4-byte Folded Reload
	buffer_load_dword v55, off, s[52:55], 0 offset:964 ; 4-byte Folded Reload
	v_add_f64 v[32:33], v[50:51], v[32:33]
	v_add_f64 v[50:51], v[52:53], v[200:201]
	v_add_f64 v[52:53], v[70:71], -v[126:127]
	s_waitcnt vmcnt(0)
	v_add_f64 v[46:47], v[46:47], -v[54:55]
	buffer_load_dword v54, off, s[52:55], 0 offset:944 ; 4-byte Folded Reload
	buffer_load_dword v55, off, s[52:55], 0 offset:948 ; 4-byte Folded Reload
	;; [unrolled: 1-line block ×4, first 2 shown]
	v_add_f64 v[36:37], v[46:47], v[36:37]
	v_add_f64 v[46:47], v[124:125], v[102:103]
	;; [unrolled: 1-line block ×4, first 2 shown]
	buffer_load_dword v48, off, s[52:55], 0 offset:648 ; 4-byte Folded Reload
	buffer_load_dword v49, off, s[52:55], 0 offset:748 ; 4-byte Folded Reload
	s_waitcnt vmcnt(4)
	v_add_f64 v[54:55], v[54:55], v[104:105]
	s_waitcnt vmcnt(2)
	v_add_f64 v[42:43], v[74:75], -v[42:43]
	v_add_f64 v[34:35], v[54:55], v[34:35]
	v_add_f64 v[54:55], v[86:87], -v[122:123]
	v_add_f64 v[32:33], v[42:43], v[32:33]
	v_add_f64 v[42:43], v[50:51], v[160:161]
	v_add_f64 v[50:51], v[88:89], -v[198:199]
	v_add_f64 v[46:47], v[46:47], v[34:35]
	v_add_f64 v[34:35], v[38:39], v[194:195]
	;; [unrolled: 1-line block ×4, first 2 shown]
	s_waitcnt vmcnt(0)
	v_lshl_add_u32 v48, v49, 4, v48
	v_add_f64 v[38:39], v[56:57], v[44:45]
	v_add_f64 v[42:43], v[58:59], v[66:67]
	;; [unrolled: 1-line block ×5, first 2 shown]
	ds_write_b128 v48, v[32:35]
	ds_write_b128 v48, v[252:255] offset:16
	ds_write_b128 v48, v[0:3] offset:32
	;; [unrolled: 1-line block ×12, first 2 shown]
.LBB0_17:
	s_or_b64 exec, exec, s[20:21]
	s_waitcnt lgkmcnt(0)
	s_barrier
	ds_read_b128 v[28:31], v178
	ds_read_b128 v[24:27], v178 offset:1456
	ds_read_b128 v[84:87], v178 offset:3120
	;; [unrolled: 1-line block ×13, first 2 shown]
	s_and_saveexec_b64 s[2:3], s[0:1]
	s_cbranch_execz .LBB0_19
; %bb.18:
	ds_read_b128 v[252:255], v178 offset:2912
	ds_read_b128 v[0:3], v178 offset:6032
	;; [unrolled: 1-line block ×7, first 2 shown]
.LBB0_19:
	s_or_b64 exec, exec, s[2:3]
	buffer_load_dword v88, off, s[52:55], 0 offset:268 ; 4-byte Folded Reload
	buffer_load_dword v89, off, s[52:55], 0 offset:272 ; 4-byte Folded Reload
	;; [unrolled: 1-line block ×4, first 2 shown]
	s_mov_b32 s14, 0x37e14327
	s_mov_b32 s4, 0x36b3c0b5
	;; [unrolled: 1-line block ×20, first 2 shown]
	v_add_u32_e32 v70, 0xb60, v178
	v_add_u32_e32 v69, 0x1110, v178
	;; [unrolled: 1-line block ×3, first 2 shown]
	s_waitcnt vmcnt(0) lgkmcnt(11)
	v_mul_f64 v[71:72], v[90:91], v[86:87]
	v_mul_f64 v[73:74], v[90:91], v[84:85]
	v_fma_f64 v[71:72], v[88:89], v[84:85], v[71:72]
	v_fma_f64 v[73:74], v[88:89], v[86:87], -v[73:74]
	buffer_load_dword v86, off, s[52:55], 0 offset:252 ; 4-byte Folded Reload
	buffer_load_dword v87, off, s[52:55], 0 offset:256 ; 4-byte Folded Reload
	buffer_load_dword v88, off, s[52:55], 0 offset:260 ; 4-byte Folded Reload
	buffer_load_dword v89, off, s[52:55], 0 offset:264 ; 4-byte Folded Reload
	s_waitcnt vmcnt(0) lgkmcnt(9)
	v_mul_f64 v[84:85], v[88:89], v[82:83]
	v_fma_f64 v[84:85], v[86:87], v[80:81], v[84:85]
	v_mul_f64 v[80:81], v[88:89], v[80:81]
	v_fma_f64 v[80:81], v[86:87], v[82:83], -v[80:81]
	buffer_load_dword v86, off, s[52:55], 0 offset:236 ; 4-byte Folded Reload
	buffer_load_dword v87, off, s[52:55], 0 offset:240 ; 4-byte Folded Reload
	buffer_load_dword v88, off, s[52:55], 0 offset:244 ; 4-byte Folded Reload
	buffer_load_dword v89, off, s[52:55], 0 offset:248 ; 4-byte Folded Reload
	s_waitcnt vmcnt(0) lgkmcnt(7)
	v_mul_f64 v[82:83], v[88:89], v[78:79]
	v_fma_f64 v[82:83], v[86:87], v[76:77], v[82:83]
	v_mul_f64 v[75:76], v[88:89], v[76:77]
	;; [unrolled: 9-line block ×5, first 2 shown]
	v_fma_f64 v[56:57], v[86:87], v[58:59], -v[56:57]
	buffer_load_dword v86, off, s[52:55], 0 offset:364 ; 4-byte Folded Reload
	buffer_load_dword v87, off, s[52:55], 0 offset:368 ; 4-byte Folded Reload
	;; [unrolled: 1-line block ×8, first 2 shown]
	s_waitcnt vmcnt(4)
	v_mul_f64 v[58:59], v[88:89], v[54:55]
	v_fma_f64 v[58:59], v[86:87], v[52:53], v[58:59]
	v_mul_f64 v[52:53], v[88:89], v[52:53]
	v_fma_f64 v[86:87], v[86:87], v[54:55], -v[52:53]
	s_waitcnt vmcnt(0)
	v_mul_f64 v[52:53], v[92:93], v[50:51]
	v_add_f64 v[54:55], v[64:65], -v[75:76]
	v_fma_f64 v[88:89], v[90:91], v[48:49], v[52:53]
	v_mul_f64 v[48:49], v[92:93], v[48:49]
	v_fma_f64 v[90:91], v[90:91], v[50:51], -v[48:49]
	buffer_load_dword v50, off, s[52:55], 0 offset:332 ; 4-byte Folded Reload
	buffer_load_dword v51, off, s[52:55], 0 offset:336 ; 4-byte Folded Reload
	;; [unrolled: 1-line block ×4, first 2 shown]
	s_waitcnt vmcnt(0)
	v_mul_f64 v[48:49], v[52:53], v[46:47]
	v_fma_f64 v[92:93], v[50:51], v[44:45], v[48:49]
	v_mul_f64 v[44:45], v[52:53], v[44:45]
	v_add_f64 v[52:53], v[77:78], -v[82:83]
	v_fma_f64 v[94:95], v[50:51], v[46:47], -v[44:45]
	buffer_load_dword v46, off, s[52:55], 0 offset:300 ; 4-byte Folded Reload
	buffer_load_dword v47, off, s[52:55], 0 offset:304 ; 4-byte Folded Reload
	;; [unrolled: 1-line block ×4, first 2 shown]
	v_add_f64 v[50:51], v[75:76], v[64:65]
	s_waitcnt vmcnt(0)
	v_mul_f64 v[44:45], v[48:49], v[42:43]
	v_fma_f64 v[98:99], v[46:47], v[40:41], v[44:45]
	v_mul_f64 v[40:41], v[48:49], v[40:41]
	v_add_f64 v[48:49], v[82:83], v[77:78]
	v_fma_f64 v[100:101], v[46:47], v[42:43], -v[40:41]
	buffer_load_dword v42, off, s[52:55], 0 offset:396 ; 4-byte Folded Reload
	buffer_load_dword v43, off, s[52:55], 0 offset:400 ; 4-byte Folded Reload
	;; [unrolled: 1-line block ×4, first 2 shown]
	v_add_f64 v[46:47], v[80:81], -v[60:61]
	v_add_f64 v[77:78], v[94:95], v[100:101]
	v_add_f64 v[75:76], v[54:55], -v[46:47]
	s_waitcnt vmcnt(0)
	v_mul_f64 v[40:41], v[44:45], v[38:39]
	v_fma_f64 v[102:103], v[42:43], v[36:37], v[40:41]
	v_mul_f64 v[36:37], v[44:45], v[36:37]
	v_add_f64 v[44:45], v[84:85], -v[66:67]
	v_fma_f64 v[104:105], v[42:43], v[38:39], -v[36:37]
	buffer_load_dword v38, off, s[52:55], 0 offset:380 ; 4-byte Folded Reload
	buffer_load_dword v39, off, s[52:55], 0 offset:384 ; 4-byte Folded Reload
	;; [unrolled: 1-line block ×4, first 2 shown]
	v_add_f64 v[42:43], v[80:81], v[60:61]
	v_add_f64 v[79:80], v[98:99], -v[92:93]
	v_add_f64 v[81:82], v[100:101], -v[94:95]
	s_waitcnt vmcnt(0) lgkmcnt(0)
	s_barrier
	v_mul_f64 v[36:37], v[40:41], v[34:35]
	v_fma_f64 v[106:107], v[38:39], v[32:33], v[36:37]
	v_mul_f64 v[32:33], v[40:41], v[32:33]
	v_add_f64 v[40:41], v[84:85], v[66:67]
	v_add_f64 v[36:37], v[71:72], -v[62:63]
	v_add_f64 v[66:67], v[52:53], v[44:45]
	v_fma_f64 v[108:109], v[38:39], v[34:35], -v[32:33]
	v_add_f64 v[32:33], v[71:72], v[62:63]
	v_add_f64 v[34:35], v[73:74], v[56:57]
	v_add_f64 v[38:39], v[73:74], -v[56:57]
	v_add_f64 v[71:72], v[54:55], v[46:47]
	v_add_f64 v[73:74], v[52:53], -v[44:45]
	v_add_f64 v[44:45], v[44:45], -v[36:37]
	v_add_f64 v[52:53], v[36:37], -v[52:53]
	v_add_f64 v[36:37], v[66:67], v[36:37]
	v_add_f64 v[56:57], v[40:41], v[32:33]
	;; [unrolled: 1-line block ×3, first 2 shown]
	v_add_f64 v[62:63], v[40:41], -v[32:33]
	v_add_f64 v[64:65], v[42:43], -v[34:35]
	;; [unrolled: 1-line block ×6, first 2 shown]
	v_add_f64 v[48:49], v[48:49], v[56:57]
	v_add_f64 v[50:51], v[50:51], v[60:61]
	v_add_f64 v[54:55], v[38:39], -v[54:55]
	v_add_f64 v[46:47], v[46:47], -v[38:39]
	v_add_f64 v[38:39], v[71:72], v[38:39]
	v_mul_f64 v[32:33], v[32:33], s[14:15]
	v_mul_f64 v[34:35], v[34:35], s[14:15]
	;; [unrolled: 1-line block ×3, first 2 shown]
	v_add_f64 v[28:29], v[28:29], v[48:49]
	v_add_f64 v[30:31], v[30:31], v[50:51]
	v_mul_f64 v[60:61], v[42:43], s[4:5]
	v_mul_f64 v[66:67], v[73:74], s[16:17]
	;; [unrolled: 1-line block ×5, first 2 shown]
	v_fma_f64 v[40:41], v[40:41], s[4:5], v[32:33]
	v_fma_f64 v[48:49], v[48:49], s[24:25], v[28:29]
	;; [unrolled: 1-line block ×4, first 2 shown]
	v_fma_f64 v[56:57], v[62:63], s[12:13], -v[56:57]
	v_fma_f64 v[60:61], v[64:65], s[12:13], -v[60:61]
	;; [unrolled: 1-line block ×4, first 2 shown]
	v_fma_f64 v[62:63], v[52:53], s[26:27], v[66:67]
	v_fma_f64 v[64:65], v[54:55], s[26:27], v[71:72]
	v_fma_f64 v[44:45], v[44:45], s[2:3], -v[66:67]
	v_fma_f64 v[46:47], v[46:47], s[2:3], -v[71:72]
	;; [unrolled: 1-line block ×4, first 2 shown]
	v_add_f64 v[66:67], v[40:41], v[48:49]
	v_add_f64 v[71:72], v[42:43], v[50:51]
	;; [unrolled: 1-line block ×5, first 2 shown]
	v_fma_f64 v[64:65], v[38:39], s[20:21], v[64:65]
	v_fma_f64 v[73:74], v[36:37], s[20:21], v[44:45]
	;; [unrolled: 1-line block ×4, first 2 shown]
	v_add_f64 v[48:49], v[32:33], v[48:49]
	v_fma_f64 v[62:63], v[36:37], s[20:21], v[62:63]
	v_fma_f64 v[54:55], v[38:39], s[20:21], v[54:55]
	v_add_f64 v[75:76], v[92:93], v[98:99]
	v_add_f64 v[32:33], v[64:65], v[66:67]
	;; [unrolled: 1-line block ×3, first 2 shown]
	v_add_f64 v[40:41], v[56:57], -v[44:45]
	v_add_f64 v[38:39], v[50:51], -v[52:53]
	v_add_f64 v[44:45], v[44:45], v[56:57]
	v_add_f64 v[50:51], v[52:53], v[50:51]
	v_add_f64 v[52:53], v[66:67], -v[64:65]
	v_add_f64 v[56:57], v[58:59], v[106:107]
	v_add_f64 v[64:65], v[88:89], v[102:103]
	v_add_f64 v[34:35], v[71:72], -v[62:63]
	v_add_f64 v[36:37], v[54:55], v[48:49]
	v_add_f64 v[46:47], v[60:61], -v[73:74]
	v_add_f64 v[48:49], v[48:49], -v[54:55]
	v_add_f64 v[54:55], v[62:63], v[71:72]
	v_add_f64 v[71:72], v[88:89], -v[102:103]
	v_add_f64 v[73:74], v[90:91], -v[104:105]
	v_add_f64 v[83:84], v[64:65], v[56:57]
	v_add_f64 v[60:61], v[86:87], v[108:109]
	v_add_f64 v[58:59], v[58:59], -v[106:107]
	v_add_f64 v[62:63], v[86:87], -v[108:109]
	v_add_f64 v[66:67], v[90:91], v[104:105]
	v_add_f64 v[87:88], v[64:65], -v[56:57]
	v_add_f64 v[56:57], v[56:57], -v[75:76]
	;; [unrolled: 1-line block ×3, first 2 shown]
	v_add_f64 v[91:92], v[79:80], v[71:72]
	v_add_f64 v[93:94], v[81:82], v[73:74]
	v_add_f64 v[98:99], v[79:80], -v[71:72]
	v_add_f64 v[100:101], v[81:82], -v[73:74]
	v_add_f64 v[75:76], v[75:76], v[83:84]
	v_add_f64 v[79:80], v[58:59], -v[79:80]
	v_add_f64 v[81:82], v[62:63], -v[81:82]
	;; [unrolled: 1-line block ×4, first 2 shown]
	v_add_f64 v[58:59], v[91:92], v[58:59]
	v_add_f64 v[62:63], v[93:94], v[62:63]
	v_mul_f64 v[83:84], v[64:65], s[4:5]
	v_add_f64 v[24:25], v[24:25], v[75:76]
	v_mul_f64 v[91:92], v[98:99], s[16:17]
	v_mul_f64 v[93:94], v[100:101], s[16:17]
	;; [unrolled: 1-line block ×5, first 2 shown]
	v_add_f64 v[85:86], v[66:67], v[60:61]
	v_fma_f64 v[83:84], v[87:88], s[12:13], -v[83:84]
	v_fma_f64 v[75:76], v[75:76], s[24:25], v[24:25]
	v_fma_f64 v[71:72], v[71:72], s[2:3], -v[91:92]
	v_fma_f64 v[73:74], v[73:74], s[2:3], -v[93:94]
	v_fma_f64 v[64:65], v[64:65], s[4:5], v[56:57]
	v_fma_f64 v[56:57], v[87:88], s[18:19], -v[56:57]
	v_fma_f64 v[87:88], v[79:80], s[26:27], v[91:92]
	v_fma_f64 v[79:80], v[79:80], s[22:23], -v[98:99]
	v_add_f64 v[89:90], v[66:67], -v[60:61]
	v_add_f64 v[83:84], v[83:84], v[75:76]
	v_fma_f64 v[98:99], v[58:59], s[20:21], v[71:72]
	v_fma_f64 v[71:72], v[62:63], s[20:21], v[73:74]
	v_add_f64 v[91:92], v[64:65], v[75:76]
	v_add_f64 v[60:61], v[60:61], -v[77:78]
	v_add_f64 v[66:67], v[77:78], -v[66:67]
	v_add_f64 v[77:78], v[77:78], v[85:86]
	v_fma_f64 v[87:88], v[58:59], s[20:21], v[87:88]
	v_add_f64 v[75:76], v[56:57], v[75:76]
	v_fma_f64 v[79:80], v[58:59], s[20:21], v[79:80]
	v_add_f64 v[64:65], v[83:84], -v[71:72]
	v_add_f64 v[71:72], v[71:72], v[83:84]
	buffer_load_dword v83, off, s[52:55], 0 offset:464 ; 4-byte Folded Reload
	v_mul_f64 v[60:61], v[60:61], s[14:15]
	v_add_f64 v[26:27], v[26:27], v[77:78]
	v_mul_f64 v[85:86], v[66:67], s[4:5]
	s_waitcnt vmcnt(0)
	ds_write_b128 v83, v[28:31]
	ds_write_b128 v83, v[32:35] offset:208
	ds_write_b128 v83, v[36:39] offset:416
	;; [unrolled: 1-line block ×6, first 2 shown]
	buffer_load_dword v28, off, s[52:55], 0 offset:484 ; 4-byte Folded Reload
	v_fma_f64 v[77:78], v[77:78], s[24:25], v[26:27]
	v_fma_f64 v[66:67], v[66:67], s[4:5], v[60:61]
	v_fma_f64 v[85:86], v[89:90], s[12:13], -v[85:86]
	v_fma_f64 v[60:61], v[89:90], s[18:19], -v[60:61]
	v_fma_f64 v[89:90], v[81:82], s[26:27], v[93:94]
	v_fma_f64 v[81:82], v[81:82], s[22:23], -v[100:101]
	v_add_f64 v[93:94], v[66:67], v[77:78]
	v_add_f64 v[85:86], v[85:86], v[77:78]
	;; [unrolled: 1-line block ×3, first 2 shown]
	v_fma_f64 v[89:90], v[62:63], s[20:21], v[89:90]
	v_fma_f64 v[81:82], v[62:63], s[20:21], v[81:82]
	v_add_f64 v[58:59], v[93:94], -v[87:88]
	v_add_f64 v[66:67], v[98:99], v[85:86]
	v_add_f64 v[62:63], v[77:78], -v[79:80]
	v_add_f64 v[56:57], v[89:90], v[91:92]
	v_add_f64 v[60:61], v[81:82], v[75:76]
	v_add_f64 v[73:74], v[85:86], -v[98:99]
	v_add_f64 v[75:76], v[75:76], -v[81:82]
	v_add_f64 v[77:78], v[79:80], v[77:78]
	v_add_f64 v[79:80], v[91:92], -v[89:90]
	v_add_f64 v[81:82], v[87:88], v[93:94]
	s_waitcnt vmcnt(0)
	ds_write_b128 v28, v[24:27]
	ds_write_b128 v28, v[56:59] offset:208
	ds_write_b128 v28, v[60:63] offset:416
	;; [unrolled: 1-line block ×6, first 2 shown]
	s_and_saveexec_b64 s[28:29], s[0:1]
	s_cbranch_execz .LBB0_21
; %bb.20:
	buffer_load_dword v44, off, s[52:55], 0 offset:652 ; 4-byte Folded Reload
	buffer_load_dword v45, off, s[52:55], 0 offset:656 ; 4-byte Folded Reload
	;; [unrolled: 1-line block ×16, first 2 shown]
	s_waitcnt vmcnt(12)
	v_mul_f64 v[24:25], v[46:47], v[14:15]
	s_waitcnt vmcnt(8)
	v_mul_f64 v[26:27], v[50:51], v[10:11]
	s_waitcnt vmcnt(4)
	v_mul_f64 v[34:35], v[58:59], v[0:1]
	s_waitcnt vmcnt(0)
	v_mul_f64 v[30:31], v[62:63], v[22:23]
	v_mul_f64 v[32:33], v[62:63], v[20:21]
	buffer_load_dword v62, off, s[52:55], 0 offset:732 ; 4-byte Folded Reload
	buffer_load_dword v63, off, s[52:55], 0 offset:736 ; 4-byte Folded Reload
	buffer_load_dword v64, off, s[52:55], 0 offset:740 ; 4-byte Folded Reload
	buffer_load_dword v65, off, s[52:55], 0 offset:744 ; 4-byte Folded Reload
	buffer_load_dword v52, off, s[52:55], 0 offset:684 ; 4-byte Folded Reload
	buffer_load_dword v53, off, s[52:55], 0 offset:688 ; 4-byte Folded Reload
	buffer_load_dword v54, off, s[52:55], 0 offset:692 ; 4-byte Folded Reload
	buffer_load_dword v55, off, s[52:55], 0 offset:696 ; 4-byte Folded Reload
	v_mul_f64 v[28:29], v[58:59], v[2:3]
	v_fma_f64 v[24:25], v[44:45], v[12:13], v[24:25]
	v_fma_f64 v[26:27], v[48:49], v[8:9], v[26:27]
	v_fma_f64 v[22:23], v[60:61], v[22:23], -v[32:33]
	v_fma_f64 v[32:33], v[56:57], v[2:3], -v[34:35]
	v_mul_f64 v[2:3], v[50:51], v[8:9]
	v_mul_f64 v[8:9], v[46:47], v[12:13]
	v_fma_f64 v[0:1], v[56:57], v[0:1], v[28:29]
	v_fma_f64 v[10:11], v[48:49], v[10:11], -v[2:3]
	v_fma_f64 v[8:9], v[44:45], v[14:15], -v[8:9]
	v_add_f64 v[14:15], v[32:33], v[22:23]
	v_add_f64 v[2:3], v[24:25], -v[26:27]
	v_add_f64 v[24:25], v[26:27], v[24:25]
	s_waitcnt vmcnt(4)
	v_mul_f64 v[36:37], v[64:65], v[16:17]
	s_waitcnt vmcnt(0)
	v_mul_f64 v[38:39], v[54:55], v[4:5]
	v_mul_f64 v[40:41], v[54:55], v[6:7]
	;; [unrolled: 1-line block ×3, first 2 shown]
	v_fma_f64 v[12:13], v[62:63], v[18:19], -v[36:37]
	v_fma_f64 v[6:7], v[52:53], v[6:7], -v[38:39]
	v_fma_f64 v[18:19], v[60:61], v[20:21], v[30:31]
	v_fma_f64 v[4:5], v[52:53], v[4:5], v[40:41]
	;; [unrolled: 1-line block ×3, first 2 shown]
	v_add_f64 v[30:31], v[10:11], v[8:9]
	v_add_f64 v[8:9], v[8:9], -v[10:11]
	v_add_f64 v[20:21], v[6:7], v[12:13]
	v_add_f64 v[36:37], v[0:1], -v[18:19]
	;; [unrolled: 2-line block ×4, first 2 shown]
	v_add_f64 v[10:11], v[6:7], -v[12:13]
	v_add_f64 v[12:13], v[32:33], -v[22:23]
	v_add_f64 v[34:35], v[20:21], v[14:15]
	v_add_f64 v[14:15], v[20:21], -v[14:15]
	v_add_f64 v[6:7], v[18:19], -v[24:25]
	;; [unrolled: 1-line block ×3, first 2 shown]
	v_add_f64 v[40:41], v[2:3], v[28:29]
	v_add_f64 v[42:43], v[4:5], v[18:19]
	v_mul_f64 v[26:27], v[0:1], s[14:15]
	v_add_f64 v[22:23], v[28:29], -v[36:37]
	v_add_f64 v[16:17], v[30:31], v[34:35]
	v_add_f64 v[34:35], v[36:37], -v[2:3]
	v_add_f64 v[30:31], v[30:31], -v[20:21]
	v_mul_f64 v[38:39], v[38:39], s[16:17]
	v_add_f64 v[40:41], v[40:41], v[36:37]
	v_add_f64 v[42:43], v[24:25], v[42:43]
	v_add_f64 v[24:25], v[24:25], -v[4:5]
	v_add_f64 v[36:37], v[8:9], -v[10:11]
	v_add_f64 v[2:3], v[254:255], v[16:17]
	v_add_f64 v[4:5], v[4:5], -v[18:19]
	v_fma_f64 v[46:47], v[30:31], s[4:5], v[26:27]
	v_fma_f64 v[44:45], v[34:35], s[26:27], v[38:39]
	v_mul_f64 v[20:21], v[30:31], s[4:5]
	v_add_f64 v[0:1], v[252:253], v[42:43]
	v_mul_f64 v[30:31], v[6:7], s[14:15]
	v_fma_f64 v[26:27], v[14:15], s[18:19], -v[26:27]
	v_fma_f64 v[16:17], v[16:17], s[24:25], v[2:3]
	v_add_f64 v[48:49], v[10:11], -v[12:13]
	v_mul_f64 v[36:37], v[36:37], s[16:17]
	v_fma_f64 v[28:29], v[40:41], s[20:21], v[44:45]
	v_mul_f64 v[44:45], v[22:23], s[2:3]
	v_fma_f64 v[42:43], v[42:43], s[24:25], v[0:1]
	v_add_f64 v[32:33], v[46:47], v[16:17]
	v_add_f64 v[46:47], v[12:13], -v[8:9]
	v_add_f64 v[8:9], v[8:9], v[10:11]
	v_mul_f64 v[10:11], v[24:25], s[4:5]
	v_fma_f64 v[34:35], v[34:35], s[22:23], -v[44:45]
	v_mul_f64 v[18:19], v[48:49], s[2:3]
	v_fma_f64 v[24:25], v[24:25], s[4:5], v[30:31]
	v_add_f64 v[6:7], v[28:29], v[32:33]
	v_fma_f64 v[44:45], v[46:47], s[26:27], v[36:37]
	v_add_f64 v[8:9], v[8:9], v[12:13]
	v_fma_f64 v[12:13], v[14:15], s[12:13], -v[20:21]
	v_fma_f64 v[14:15], v[22:23], s[2:3], -v[38:39]
	v_add_f64 v[22:23], v[26:27], v[16:17]
	v_fma_f64 v[26:27], v[4:5], s[18:19], -v[30:31]
	v_fma_f64 v[4:5], v[4:5], s[12:13], -v[10:11]
	;; [unrolled: 1-line block ×4, first 2 shown]
	v_fma_f64 v[20:21], v[40:41], s[20:21], v[34:35]
	v_add_f64 v[30:31], v[24:25], v[42:43]
	v_fma_f64 v[34:35], v[8:9], s[20:21], v[44:45]
	v_add_f64 v[12:13], v[12:13], v[16:17]
	v_add_f64 v[36:37], v[26:27], v[42:43]
	v_add_f64 v[26:27], v[32:33], -v[28:29]
	buffer_load_dword v28, off, s[52:55], 0 offset:412 ; 4-byte Folded Reload
	v_fma_f64 v[38:39], v[8:9], s[20:21], v[18:19]
	v_fma_f64 v[16:17], v[40:41], s[20:21], v[14:15]
	v_add_f64 v[4:5], v[4:5], v[42:43]
	v_fma_f64 v[8:9], v[8:9], s[20:21], v[10:11]
	v_add_f64 v[24:25], v[34:35], v[30:31]
	v_add_f64 v[10:11], v[20:21], v[22:23]
	v_add_f64 v[22:23], v[22:23], -v[20:21]
	v_add_f64 v[20:21], v[38:39], v[36:37]
	v_add_f64 v[14:15], v[12:13], -v[16:17]
	;; [unrolled: 2-line block ×4, first 2 shown]
	v_add_f64 v[4:5], v[30:31], -v[34:35]
	s_waitcnt vmcnt(0)
	ds_write_b128 v28, v[0:3] offset:20384
	ds_write_b128 v28, v[24:27] offset:20592
	;; [unrolled: 1-line block ×7, first 2 shown]
.LBB0_21:
	s_or_b64 exec, exec, s[28:29]
	s_waitcnt lgkmcnt(0)
	s_barrier
	ds_read_b128 v[0:3], v178
	ds_read_b128 v[4:7], v178 offset:1456
	ds_read_b128 v[8:11], v178 offset:8736
	;; [unrolled: 1-line block ×14, first 2 shown]
	buffer_load_dword v77, off, s[52:55], 0 offset:468 ; 4-byte Folded Reload
	buffer_load_dword v78, off, s[52:55], 0 offset:472 ; 4-byte Folded Reload
	;; [unrolled: 1-line block ×12, first 2 shown]
	s_waitcnt lgkmcnt(8)
	v_mul_f64 v[60:61], v[158:159], v[26:27]
	v_mul_f64 v[62:63], v[158:159], v[24:25]
	;; [unrolled: 1-line block ×4, first 2 shown]
	s_waitcnt lgkmcnt(4)
	v_mul_f64 v[71:72], v[150:151], v[42:43]
	v_mul_f64 v[73:74], v[150:151], v[40:41]
	;; [unrolled: 1-line block ×3, first 2 shown]
	s_mov_b32 s0, 0x134454ff
	v_fma_f64 v[24:25], v[156:157], v[24:25], v[60:61]
	v_mul_f64 v[60:61], v[146:147], v[18:19]
	v_fma_f64 v[26:27], v[156:157], v[26:27], -v[62:63]
	v_fma_f64 v[62:63], v[152:153], v[8:9], v[64:65]
	v_fma_f64 v[64:65], v[152:153], v[10:11], -v[66:67]
	v_fma_f64 v[10:11], v[148:149], v[40:41], v[71:72]
	v_fma_f64 v[40:41], v[148:149], v[42:43], -v[73:74]
	v_mul_f64 v[8:9], v[158:159], v[34:35]
	v_fma_f64 v[18:19], v[144:145], v[18:19], -v[75:76]
	v_fma_f64 v[16:17], v[144:145], v[16:17], v[60:61]
	v_mul_f64 v[42:43], v[158:159], v[32:33]
	v_mul_f64 v[60:61], v[154:155], v[14:15]
	;; [unrolled: 1-line block ×3, first 2 shown]
	s_waitcnt lgkmcnt(2)
	v_mul_f64 v[71:72], v[150:151], v[50:51]
	v_mul_f64 v[75:76], v[146:147], v[20:21]
	;; [unrolled: 1-line block ×3, first 2 shown]
	v_fma_f64 v[32:33], v[156:157], v[32:33], v[8:9]
	v_mul_f64 v[8:9], v[146:147], v[22:23]
	v_fma_f64 v[34:35], v[156:157], v[34:35], -v[42:43]
	v_fma_f64 v[42:43], v[152:153], v[12:13], v[60:61]
	v_fma_f64 v[60:61], v[152:153], v[14:15], -v[66:67]
	v_fma_f64 v[48:49], v[148:149], v[48:49], v[71:72]
	v_fma_f64 v[71:72], v[144:145], v[22:23], -v[75:76]
	v_fma_f64 v[50:51], v[148:149], v[50:51], -v[73:74]
	v_add_f64 v[73:74], v[62:63], v[10:11]
	v_fma_f64 v[66:67], v[144:145], v[20:21], v[8:9]
	v_add_f64 v[20:21], v[0:1], v[24:25]
	s_mov_b32 s1, 0xbfee6f0e
	s_mov_b32 s2, 0x4755a5e
	s_mov_b32 s3, 0xbfe2cf23
	s_mov_b32 s5, 0x3fee6f0e
	s_mov_b32 s4, s0
	s_mov_b32 s13, 0x3fe2cf23
	s_mov_b32 s12, s2
	s_mov_b32 s14, 0x372fe950
	s_mov_b32 s15, 0x3fd3c6ef
	s_waitcnt vmcnt(8)
	v_mul_f64 v[12:13], v[79:80], v[38:39]
	s_waitcnt vmcnt(4)
	v_mul_f64 v[14:15], v[87:88], v[46:47]
	v_mul_f64 v[22:23], v[87:88], v[44:45]
	;; [unrolled: 1-line block ×3, first 2 shown]
	v_fma_f64 v[75:76], v[77:78], v[36:37], v[12:13]
	s_waitcnt vmcnt(0) lgkmcnt(1)
	v_mul_f64 v[12:13], v[83:84], v[54:55]
	v_mul_f64 v[36:37], v[83:84], v[52:53]
	v_fma_f64 v[79:80], v[85:86], v[44:45], v[14:15]
	v_fma_f64 v[46:47], v[85:86], v[46:47], -v[22:23]
	buffer_load_dword v83, off, s[52:55], 0 offset:416 ; 4-byte Folded Reload
	buffer_load_dword v84, off, s[52:55], 0 offset:420 ; 4-byte Folded Reload
	;; [unrolled: 1-line block ×4, first 2 shown]
	v_fma_f64 v[77:78], v[77:78], v[38:39], -v[8:9]
	v_add_f64 v[8:9], v[20:21], v[62:63]
	v_fma_f64 v[14:15], v[73:74], -0.5, v[0:1]
	v_add_f64 v[20:21], v[26:27], -v[18:19]
	v_fma_f64 v[52:53], v[81:82], v[52:53], v[12:13]
	v_fma_f64 v[54:55], v[81:82], v[54:55], -v[36:37]
	v_add_f64 v[38:39], v[64:65], -v[40:41]
	v_add_f64 v[44:45], v[24:25], v[16:17]
	v_add_f64 v[73:74], v[24:25], -v[62:63]
	v_add_f64 v[81:82], v[16:17], -v[10:11]
	v_add_f64 v[8:9], v[8:9], v[10:11]
	v_fma_f64 v[36:37], v[20:21], s[0:1], v[14:15]
	v_fma_f64 v[14:15], v[20:21], s[4:5], v[14:15]
	s_waitcnt vmcnt(0) lgkmcnt(0)
	s_barrier
	v_fma_f64 v[0:1], v[44:45], -0.5, v[0:1]
	v_add_f64 v[44:45], v[64:65], v[40:41]
	v_add_f64 v[8:9], v[8:9], v[16:17]
	v_fma_f64 v[14:15], v[38:39], s[12:13], v[14:15]
	v_fma_f64 v[44:45], v[44:45], -0.5, v[2:3]
	v_mul_f64 v[12:13], v[85:86], v[58:59]
	v_mul_f64 v[22:23], v[85:86], v[56:57]
	v_add_f64 v[85:86], v[48:49], -v[66:67]
	v_fma_f64 v[56:57], v[83:84], v[56:57], v[12:13]
	v_fma_f64 v[12:13], v[38:39], s[2:3], v[36:37]
	v_add_f64 v[36:37], v[2:3], v[26:27]
	v_fma_f64 v[58:59], v[83:84], v[58:59], -v[22:23]
	v_add_f64 v[22:23], v[73:74], v[81:82]
	v_fma_f64 v[73:74], v[38:39], s[4:5], v[0:1]
	v_add_f64 v[81:82], v[62:63], -v[24:25]
	v_add_f64 v[83:84], v[10:11], -v[16:17]
	v_fma_f64 v[0:1], v[38:39], s[0:1], v[0:1]
	v_add_f64 v[24:25], v[24:25], -v[16:17]
	v_add_f64 v[36:37], v[36:37], v[64:65]
	v_add_f64 v[62:63], v[62:63], -v[10:11]
	v_fma_f64 v[16:17], v[20:21], s[2:3], v[73:74]
	v_add_f64 v[38:39], v[81:82], v[83:84]
	v_fma_f64 v[20:21], v[20:21], s[12:13], v[0:1]
	v_add_f64 v[81:82], v[26:27], v[18:19]
	v_add_f64 v[36:37], v[36:37], v[40:41]
	v_fma_f64 v[73:74], v[24:25], s[4:5], v[44:45]
	v_fma_f64 v[0:1], v[22:23], s[14:15], v[12:13]
	;; [unrolled: 1-line block ×3, first 2 shown]
	v_add_f64 v[22:23], v[26:27], -v[64:65]
	v_fma_f64 v[16:17], v[38:39], s[14:15], v[16:17]
	v_fma_f64 v[20:21], v[38:39], s[14:15], v[20:21]
	v_fma_f64 v[2:3], v[81:82], -0.5, v[2:3]
	v_add_f64 v[10:11], v[36:37], v[18:19]
	v_add_f64 v[36:37], v[18:19], -v[40:41]
	v_add_f64 v[38:39], v[4:5], v[32:33]
	v_fma_f64 v[14:15], v[62:63], s[12:13], v[73:74]
	v_fma_f64 v[44:45], v[24:25], s[0:1], v[44:45]
	v_add_f64 v[73:74], v[42:43], v[48:49]
	v_add_f64 v[26:27], v[64:65], -v[26:27]
	v_fma_f64 v[81:82], v[62:63], s[0:1], v[2:3]
	v_add_f64 v[18:19], v[40:41], -v[18:19]
	v_fma_f64 v[2:3], v[62:63], s[4:5], v[2:3]
	v_add_f64 v[22:23], v[22:23], v[36:37]
	v_add_f64 v[36:37], v[38:39], v[42:43]
	v_fma_f64 v[38:39], v[62:63], s[2:3], v[44:45]
	v_fma_f64 v[40:41], v[73:74], -0.5, v[4:5]
	v_add_f64 v[44:45], v[34:35], -v[71:72]
	v_fma_f64 v[62:63], v[24:25], s[12:13], v[81:82]
	v_add_f64 v[26:27], v[26:27], v[18:19]
	v_fma_f64 v[24:25], v[24:25], s[2:3], v[2:3]
	v_add_f64 v[64:65], v[32:33], v[66:67]
	v_add_f64 v[36:37], v[36:37], v[48:49]
	v_fma_f64 v[2:3], v[22:23], s[14:15], v[14:15]
	v_fma_f64 v[14:15], v[22:23], s[14:15], v[38:39]
	v_fma_f64 v[38:39], v[44:45], s[0:1], v[40:41]
	v_add_f64 v[73:74], v[60:61], -v[50:51]
	v_fma_f64 v[18:19], v[26:27], s[14:15], v[62:63]
	v_fma_f64 v[22:23], v[26:27], s[14:15], v[24:25]
	v_fma_f64 v[24:25], v[64:65], -0.5, v[4:5]
	v_add_f64 v[4:5], v[36:37], v[66:67]
	v_add_f64 v[26:27], v[32:33], -v[42:43]
	v_add_f64 v[36:37], v[66:67], -v[48:49]
	v_fma_f64 v[40:41], v[44:45], s[4:5], v[40:41]
	v_fma_f64 v[38:39], v[73:74], s[2:3], v[38:39]
	v_add_f64 v[83:84], v[42:43], -v[32:33]
	v_add_f64 v[62:63], v[6:7], v[34:35]
	v_fma_f64 v[81:82], v[73:74], s[4:5], v[24:25]
	v_add_f64 v[64:65], v[60:61], v[50:51]
	v_add_f64 v[66:67], v[32:33], -v[66:67]
	v_add_f64 v[26:27], v[26:27], v[36:37]
	v_fma_f64 v[36:37], v[73:74], s[12:13], v[40:41]
	v_fma_f64 v[40:41], v[73:74], s[0:1], v[24:25]
	v_add_f64 v[42:43], v[42:43], -v[48:49]
	v_add_f64 v[62:63], v[62:63], v[60:61]
	v_fma_f64 v[73:74], v[44:45], s[2:3], v[81:82]
	v_add_f64 v[81:82], v[83:84], v[85:86]
	v_fma_f64 v[64:65], v[64:65], -0.5, v[6:7]
	v_fma_f64 v[24:25], v[26:27], s[14:15], v[38:39]
	v_fma_f64 v[32:33], v[26:27], s[14:15], v[36:37]
	;; [unrolled: 1-line block ×3, first 2 shown]
	v_add_f64 v[44:45], v[34:35], v[71:72]
	v_add_f64 v[38:39], v[62:63], v[50:51]
	;; [unrolled: 1-line block ×3, first 2 shown]
	v_fma_f64 v[36:37], v[81:82], s[14:15], v[73:74]
	v_fma_f64 v[62:63], v[66:67], s[4:5], v[64:65]
	v_add_f64 v[73:74], v[34:35], -v[60:61]
	v_add_f64 v[83:84], v[71:72], -v[50:51]
	v_fma_f64 v[40:41], v[81:82], s[14:15], v[26:27]
	v_fma_f64 v[26:27], v[44:45], -0.5, v[6:7]
	v_add_f64 v[44:45], v[28:29], v[75:76]
	v_fma_f64 v[64:65], v[66:67], s[0:1], v[64:65]
	v_add_f64 v[34:35], v[60:61], -v[34:35]
	v_add_f64 v[50:51], v[50:51], -v[71:72]
	v_add_f64 v[6:7], v[38:39], v[71:72]
	v_fma_f64 v[38:39], v[42:43], s[12:13], v[62:63]
	v_fma_f64 v[48:49], v[48:49], -0.5, v[28:29]
	v_fma_f64 v[81:82], v[42:43], s[0:1], v[26:27]
	v_fma_f64 v[26:27], v[42:43], s[4:5], v[26:27]
	v_add_f64 v[62:63], v[77:78], -v[58:59]
	v_add_f64 v[73:74], v[73:74], v[83:84]
	v_add_f64 v[44:45], v[44:45], v[79:80]
	v_fma_f64 v[42:43], v[42:43], s[2:3], v[64:65]
	v_add_f64 v[50:51], v[34:35], v[50:51]
	v_add_f64 v[71:72], v[46:47], -v[54:55]
	v_fma_f64 v[81:82], v[66:67], s[12:13], v[81:82]
	v_fma_f64 v[66:67], v[66:67], s[2:3], v[26:27]
	;; [unrolled: 1-line block ×3, first 2 shown]
	v_add_f64 v[83:84], v[75:76], -v[79:80]
	v_add_f64 v[85:86], v[56:57], -v[52:53]
	v_add_f64 v[64:65], v[75:76], v[56:57]
	v_add_f64 v[44:45], v[44:45], v[52:53]
	v_fma_f64 v[26:27], v[73:74], s[14:15], v[38:39]
	v_fma_f64 v[34:35], v[73:74], s[14:15], v[42:43]
	v_fma_f64 v[38:39], v[50:51], s[14:15], v[81:82]
	v_fma_f64 v[42:43], v[50:51], s[14:15], v[66:67]
	v_add_f64 v[50:51], v[46:47], v[54:55]
	v_add_f64 v[73:74], v[77:78], v[58:59]
	v_fma_f64 v[60:61], v[71:72], s[2:3], v[60:61]
	v_add_f64 v[83:84], v[83:84], v[85:86]
	v_fma_f64 v[64:65], v[64:65], -0.5, v[28:29]
	v_add_f64 v[28:29], v[44:45], v[56:57]
	v_fma_f64 v[48:49], v[62:63], s[4:5], v[48:49]
	v_add_f64 v[81:82], v[52:53], -v[56:57]
	v_add_f64 v[85:86], v[30:31], v[77:78]
	v_fma_f64 v[50:51], v[50:51], -0.5, v[30:31]
	v_add_f64 v[56:57], v[75:76], -v[56:57]
	v_add_f64 v[66:67], v[79:80], -v[75:76]
	;; [unrolled: 1-line block ×3, first 2 shown]
	v_fma_f64 v[30:31], v[73:74], -0.5, v[30:31]
	v_fma_f64 v[44:45], v[83:84], s[14:15], v[60:61]
	v_fma_f64 v[60:61], v[71:72], s[4:5], v[64:65]
	;; [unrolled: 1-line block ×4, first 2 shown]
	v_add_f64 v[71:72], v[85:86], v[46:47]
	v_fma_f64 v[73:74], v[56:57], s[4:5], v[50:51]
	v_add_f64 v[75:76], v[77:78], -v[46:47]
	v_add_f64 v[79:80], v[58:59], -v[54:55]
	v_add_f64 v[66:67], v[66:67], v[81:82]
	v_fma_f64 v[50:51], v[56:57], s[0:1], v[50:51]
	v_fma_f64 v[81:82], v[52:53], s[0:1], v[30:31]
	v_add_f64 v[46:47], v[46:47], -v[77:78]
	v_add_f64 v[77:78], v[54:55], -v[58:59]
	v_fma_f64 v[30:31], v[52:53], s[4:5], v[30:31]
	v_fma_f64 v[60:61], v[62:63], s[2:3], v[60:61]
	;; [unrolled: 1-line block ×3, first 2 shown]
	v_add_f64 v[54:55], v[71:72], v[54:55]
	v_fma_f64 v[64:65], v[52:53], s[12:13], v[73:74]
	v_add_f64 v[71:72], v[75:76], v[79:80]
	v_fma_f64 v[50:51], v[52:53], s[2:3], v[50:51]
	v_fma_f64 v[73:74], v[56:57], s[12:13], v[81:82]
	v_add_f64 v[75:76], v[46:47], v[77:78]
	v_fma_f64 v[77:78], v[56:57], s[2:3], v[30:31]
	;; [unrolled: 3-line block ×3, first 2 shown]
	v_fma_f64 v[46:47], v[71:72], s[14:15], v[64:65]
	v_fma_f64 v[56:57], v[66:67], s[14:15], v[62:63]
	;; [unrolled: 1-line block ×5, first 2 shown]
	ds_write_b128 v178, v[8:11]
	ds_write_b128 v178, v[0:3] offset:1456
	ds_write_b128 v178, v[16:19] offset:2912
	;; [unrolled: 1-line block ×14, first 2 shown]
	s_waitcnt lgkmcnt(0)
	s_barrier
	ds_read_b128 v[0:3], v178 offset:7280
	ds_read_b128 v[4:7], v178
	ds_read_b128 v[8:11], v178 offset:1456
	ds_read_b128 v[12:15], v178 offset:14560
	;; [unrolled: 1-line block ×10, first 2 shown]
	buffer_load_dword v75, off, s[52:55], 0 offset:488 ; 4-byte Folded Reload
	buffer_load_dword v76, off, s[52:55], 0 offset:492 ; 4-byte Folded Reload
	;; [unrolled: 1-line block ×4, first 2 shown]
	ds_read_b128 v[48:51], v178 offset:11648
	ds_read_b128 v[52:55], v178 offset:13104
	s_mov_b32 s0, 0xe8584caa
	s_mov_b32 s1, 0xbfebb67a
	s_mov_b32 s3, 0x3febb67a
	s_mov_b32 s2, s0
	s_waitcnt vmcnt(0) lgkmcnt(13)
	v_mul_f64 v[60:61], v[77:78], v[2:3]
	v_mul_f64 v[62:63], v[77:78], v[0:1]
	buffer_load_dword v77, off, s[52:55], 0 offset:504 ; 4-byte Folded Reload
	buffer_load_dword v78, off, s[52:55], 0 offset:508 ; 4-byte Folded Reload
	;; [unrolled: 1-line block ×8, first 2 shown]
	ds_read_b128 v[56:59], v178 offset:20384
	v_fma_f64 v[60:61], v[75:76], v[0:1], v[60:61]
	v_fma_f64 v[2:3], v[75:76], v[2:3], -v[62:63]
	s_waitcnt vmcnt(4) lgkmcnt(11)
	v_mul_f64 v[64:65], v[79:80], v[14:15]
	v_mul_f64 v[66:67], v[79:80], v[12:13]
	buffer_load_dword v79, off, s[52:55], 0 offset:520 ; 4-byte Folded Reload
	buffer_load_dword v80, off, s[52:55], 0 offset:524 ; 4-byte Folded Reload
	;; [unrolled: 1-line block ×4, first 2 shown]
	s_waitcnt vmcnt(4) lgkmcnt(9)
	v_mul_f64 v[71:72], v[85:86], v[22:23]
	v_mul_f64 v[73:74], v[85:86], v[20:21]
	v_fma_f64 v[12:13], v[77:78], v[12:13], v[64:65]
	v_fma_f64 v[14:15], v[77:78], v[14:15], -v[66:67]
	buffer_load_dword v75, off, s[52:55], 0 offset:552 ; 4-byte Folded Reload
	buffer_load_dword v76, off, s[52:55], 0 offset:556 ; 4-byte Folded Reload
	;; [unrolled: 1-line block ×4, first 2 shown]
	v_fma_f64 v[20:21], v[83:84], v[20:21], v[71:72]
	v_fma_f64 v[22:23], v[83:84], v[22:23], -v[73:74]
	s_waitcnt vmcnt(4)
	v_mul_f64 v[0:1], v[81:82], v[18:19]
	v_mul_f64 v[62:63], v[81:82], v[16:17]
	buffer_load_dword v81, off, s[52:55], 0 offset:568 ; 4-byte Folded Reload
	buffer_load_dword v82, off, s[52:55], 0 offset:572 ; 4-byte Folded Reload
	buffer_load_dword v83, off, s[52:55], 0 offset:576 ; 4-byte Folded Reload
	buffer_load_dword v84, off, s[52:55], 0 offset:580 ; 4-byte Folded Reload
	s_waitcnt vmcnt(4) lgkmcnt(8)
	v_mul_f64 v[64:65], v[77:78], v[26:27]
	v_mul_f64 v[66:67], v[77:78], v[24:25]
	v_fma_f64 v[16:17], v[79:80], v[16:17], v[0:1]
	v_fma_f64 v[18:19], v[79:80], v[18:19], -v[62:63]
	v_fma_f64 v[24:25], v[75:76], v[24:25], v[64:65]
	v_fma_f64 v[26:27], v[75:76], v[26:27], -v[66:67]
	s_waitcnt vmcnt(0) lgkmcnt(5)
	v_mul_f64 v[0:1], v[83:84], v[38:39]
	v_mul_f64 v[71:72], v[83:84], v[36:37]
	buffer_load_dword v83, off, s[52:55], 0 offset:600 ; 4-byte Folded Reload
	buffer_load_dword v84, off, s[52:55], 0 offset:604 ; 4-byte Folded Reload
	;; [unrolled: 1-line block ×8, first 2 shown]
	v_fma_f64 v[36:37], v[81:82], v[36:37], v[0:1]
	v_fma_f64 v[38:39], v[81:82], v[38:39], -v[71:72]
	s_waitcnt lgkmcnt(0)
	v_mul_f64 v[71:72], v[214:215], v[58:59]
	s_waitcnt vmcnt(4)
	v_mul_f64 v[73:74], v[85:86], v[50:51]
	s_waitcnt vmcnt(0)
	v_mul_f64 v[64:65], v[77:78], v[42:43]
	v_mul_f64 v[0:1], v[77:78], v[40:41]
	buffer_load_dword v77, off, s[52:55], 0 offset:616 ; 4-byte Folded Reload
	buffer_load_dword v78, off, s[52:55], 0 offset:620 ; 4-byte Folded Reload
	;; [unrolled: 1-line block ×4, first 2 shown]
	v_mul_f64 v[62:63], v[85:86], v[48:49]
	v_fma_f64 v[66:67], v[83:84], v[48:49], v[73:74]
	v_fma_f64 v[64:65], v[75:76], v[40:41], v[64:65]
	v_fma_f64 v[42:43], v[75:76], v[42:43], -v[0:1]
	v_add_f64 v[0:1], v[4:5], v[60:61]
	v_fma_f64 v[50:51], v[83:84], v[50:51], -v[62:63]
	v_add_f64 v[62:63], v[60:61], v[12:13]
	v_mul_f64 v[73:74], v[214:215], v[56:57]
	v_fma_f64 v[56:57], v[212:213], v[56:57], v[71:72]
	v_add_f64 v[71:72], v[20:21], v[16:17]
	v_add_f64 v[60:61], v[60:61], -v[12:13]
	v_add_f64 v[75:76], v[66:67], v[64:65]
	v_add_f64 v[0:1], v[0:1], v[12:13]
	v_fma_f64 v[58:59], v[212:213], v[58:59], -v[73:74]
	v_add_f64 v[73:74], v[22:23], -v[18:19]
	v_fma_f64 v[71:72], v[71:72], -0.5, v[8:9]
	s_waitcnt vmcnt(0)
	v_mul_f64 v[48:49], v[79:80], v[54:55]
	v_mul_f64 v[40:41], v[79:80], v[52:53]
	v_fma_f64 v[52:53], v[77:78], v[52:53], v[48:49]
	v_fma_f64 v[48:49], v[62:63], -0.5, v[4:5]
	v_add_f64 v[62:63], v[2:3], -v[14:15]
	v_fma_f64 v[54:55], v[77:78], v[54:55], -v[40:41]
	v_add_f64 v[40:41], v[2:3], v[14:15]
	v_add_f64 v[2:3], v[6:7], v[2:3]
	v_fma_f64 v[4:5], v[62:63], s[0:1], v[48:49]
	v_fma_f64 v[12:13], v[62:63], s[2:3], v[48:49]
	v_fma_f64 v[40:41], v[40:41], -0.5, v[6:7]
	v_add_f64 v[48:49], v[8:9], v[20:21]
	v_add_f64 v[62:63], v[22:23], v[18:19]
	;; [unrolled: 1-line block ×4, first 2 shown]
	v_fma_f64 v[6:7], v[60:61], s[2:3], v[40:41]
	v_fma_f64 v[14:15], v[60:61], s[0:1], v[40:41]
	v_add_f64 v[8:9], v[48:49], v[16:17]
	v_add_f64 v[40:41], v[24:25], v[36:37]
	v_fma_f64 v[48:49], v[62:63], -0.5, v[10:11]
	v_add_f64 v[60:61], v[20:21], -v[16:17]
	v_add_f64 v[62:63], v[26:27], v[38:39]
	v_fma_f64 v[16:17], v[73:74], s[0:1], v[71:72]
	v_fma_f64 v[20:21], v[73:74], s[2:3], v[71:72]
	v_add_f64 v[10:11], v[22:23], v[18:19]
	v_add_f64 v[71:72], v[28:29], v[24:25]
	v_fma_f64 v[40:41], v[40:41], -0.5, v[28:29]
	v_add_f64 v[73:74], v[26:27], -v[38:39]
	v_fma_f64 v[18:19], v[60:61], s[2:3], v[48:49]
	v_fma_f64 v[22:23], v[60:61], s[0:1], v[48:49]
	v_add_f64 v[26:27], v[30:31], v[26:27]
	v_fma_f64 v[48:49], v[62:63], -0.5, v[30:31]
	v_add_f64 v[60:61], v[24:25], -v[36:37]
	v_add_f64 v[62:63], v[32:33], v[66:67]
	v_add_f64 v[24:25], v[71:72], v[36:37]
	v_fma_f64 v[28:29], v[73:74], s[0:1], v[40:41]
	v_fma_f64 v[71:72], v[75:76], -0.5, v[32:33]
	v_add_f64 v[75:76], v[50:51], -v[42:43]
	v_fma_f64 v[36:37], v[73:74], s[2:3], v[40:41]
	v_add_f64 v[26:27], v[26:27], v[38:39]
	v_fma_f64 v[30:31], v[60:61], s[2:3], v[48:49]
	v_add_f64 v[73:74], v[50:51], v[42:43]
	;; [unrolled: 2-line block ×3, first 2 shown]
	v_add_f64 v[60:61], v[52:53], v[56:57]
	v_add_f64 v[62:63], v[54:55], v[58:59]
	v_fma_f64 v[40:41], v[75:76], s[0:1], v[71:72]
	v_fma_f64 v[48:49], v[75:76], s[2:3], v[71:72]
	v_add_f64 v[50:51], v[34:35], v[50:51]
	v_fma_f64 v[71:72], v[73:74], -0.5, v[34:35]
	v_add_f64 v[64:65], v[66:67], -v[64:65]
	v_add_f64 v[66:67], v[44:45], v[52:53]
	v_fma_f64 v[60:61], v[60:61], -0.5, v[44:45]
	v_add_f64 v[73:74], v[54:55], -v[58:59]
	;; [unrolled: 3-line block ×3, first 2 shown]
	v_add_f64 v[34:35], v[50:51], v[42:43]
	v_fma_f64 v[42:43], v[64:65], s[2:3], v[71:72]
	v_fma_f64 v[50:51], v[64:65], s[0:1], v[71:72]
	v_add_f64 v[44:45], v[66:67], v[56:57]
	v_fma_f64 v[52:53], v[73:74], s[0:1], v[60:61]
	v_fma_f64 v[56:57], v[73:74], s[2:3], v[60:61]
	;; [unrolled: 3-line block ×3, first 2 shown]
	ds_write_b128 v178, v[0:3]
	ds_write_b128 v180, v[4:7] offset:7280
	ds_write_b128 v180, v[12:15] offset:14560
	;; [unrolled: 1-line block ×14, first 2 shown]
	s_waitcnt lgkmcnt(0)
	s_barrier
	ds_read_b128 v[0:3], v178
	buffer_load_dword v4, off, s[52:55], 0  ; 4-byte Folded Reload
	buffer_load_dword v5, off, s[52:55], 0 offset:4 ; 4-byte Folded Reload
	s_mov_b32 s2, 0x18018018
	s_mov_b32 s3, 0x3f480180
	s_waitcnt vmcnt(1)
	v_mov_b32_e32 v14, v4
	s_waitcnt vmcnt(0)
	ds_read_b128 v[4:7], v178 offset:1680
	buffer_load_dword v18, off, s[52:55], 0 offset:204 ; 4-byte Folded Reload
	buffer_load_dword v19, off, s[52:55], 0 offset:208 ; 4-byte Folded Reload
	;; [unrolled: 1-line block ×5, first 2 shown]
	v_mad_u64_u32 v[8:9], s[0:1], s10, v14, 0
	s_waitcnt vmcnt(1) lgkmcnt(1)
	v_mul_f64 v[10:11], v[20:21], v[2:3]
	v_mul_f64 v[12:13], v[20:21], v[0:1]
	v_fma_f64 v[0:1], v[18:19], v[0:1], v[10:11]
	v_fma_f64 v[2:3], v[18:19], v[2:3], -v[12:13]
	buffer_load_dword v19, off, s[52:55], 0 offset:140 ; 4-byte Folded Reload
	buffer_load_dword v20, off, s[52:55], 0 offset:144 ; 4-byte Folded Reload
	;; [unrolled: 1-line block ×4, first 2 shown]
	v_mad_u64_u32 v[14:15], s[0:1], s11, v14, v[9:10]
	s_waitcnt vmcnt(4)
	v_mad_u64_u32 v[15:16], s[0:1], s8, v17, 0
	v_mov_b32_e32 v9, v14
	v_mul_f64 v[0:1], v[0:1], s[2:3]
	v_mov_b32_e32 v10, v16
	v_mad_u64_u32 v[10:11], s[0:1], s9, v17, v[10:11]
	v_mul_f64 v[2:3], v[2:3], s[2:3]
	v_lshlrev_b64 v[8:9], 4, v[8:9]
	v_mov_b32_e32 v16, v10
	v_mov_b32_e32 v14, s7
	v_add_co_u32_e64 v17, s[0:1], s6, v8
	v_addc_co_u32_e64 v18, s[0:1], v14, v9, s[0:1]
	v_lshlrev_b64 v[8:9], 4, v[15:16]
	v_add_co_u32_e64 v14, s[0:1], v17, v8
	v_addc_co_u32_e64 v15, s[0:1], v18, v9, s[0:1]
	global_store_dwordx4 v[14:15], v[0:3], off
	s_mul_i32 s0, s9, 0x69
	s_mul_hi_u32 s1, s8, 0x69
	s_add_i32 s1, s1, s0
	s_mul_i32 s0, s8, 0x69
	s_lshl_b64 s[4:5], s[0:1], 4
	v_mov_b32_e32 v26, s5
	v_add_co_u32_e64 v14, s[0:1], s4, v14
	v_addc_co_u32_e64 v15, s[0:1], v15, v26, s[0:1]
	s_waitcnt vmcnt(1) lgkmcnt(0)
	v_mul_f64 v[10:11], v[21:22], v[6:7]
	v_mul_f64 v[12:13], v[21:22], v[4:5]
	v_fma_f64 v[10:11], v[19:20], v[4:5], v[10:11]
	v_fma_f64 v[12:13], v[19:20], v[6:7], -v[12:13]
	ds_read_b128 v[4:7], v178 offset:3360
	v_mul_f64 v[0:1], v[10:11], s[2:3]
	ds_read_b128 v[8:11], v178 offset:5040
	buffer_load_dword v18, off, s[52:55], 0 offset:28 ; 4-byte Folded Reload
	buffer_load_dword v19, off, s[52:55], 0 offset:32 ; 4-byte Folded Reload
	;; [unrolled: 1-line block ×4, first 2 shown]
	v_mul_f64 v[2:3], v[12:13], s[2:3]
	s_waitcnt vmcnt(0) lgkmcnt(1)
	v_mul_f64 v[12:13], v[20:21], v[6:7]
	v_mul_f64 v[16:17], v[20:21], v[4:5]
	buffer_load_dword v20, off, s[52:55], 0 offset:172 ; 4-byte Folded Reload
	buffer_load_dword v21, off, s[52:55], 0 offset:176 ; 4-byte Folded Reload
	;; [unrolled: 1-line block ×4, first 2 shown]
	v_fma_f64 v[4:5], v[18:19], v[4:5], v[12:13]
	v_fma_f64 v[12:13], v[18:19], v[6:7], -v[16:17]
	global_store_dwordx4 v[14:15], v[0:3], off
	v_add_co_u32_e64 v14, s[0:1], s4, v14
	v_addc_co_u32_e64 v15, s[0:1], v15, v26, s[0:1]
	v_mul_f64 v[0:1], v[4:5], s[2:3]
	ds_read_b128 v[4:7], v178 offset:6720
	v_mul_f64 v[2:3], v[12:13], s[2:3]
	s_waitcnt vmcnt(1) lgkmcnt(1)
	v_mul_f64 v[16:17], v[22:23], v[10:11]
	v_mul_f64 v[18:19], v[22:23], v[8:9]
	v_fma_f64 v[12:13], v[20:21], v[8:9], v[16:17]
	v_fma_f64 v[16:17], v[20:21], v[10:11], -v[18:19]
	ds_read_b128 v[8:11], v178 offset:8400
	buffer_load_dword v22, off, s[52:55], 0 offset:76 ; 4-byte Folded Reload
	buffer_load_dword v23, off, s[52:55], 0 offset:80 ; 4-byte Folded Reload
	;; [unrolled: 1-line block ×4, first 2 shown]
	s_waitcnt vmcnt(0) lgkmcnt(1)
	v_mul_f64 v[18:19], v[24:25], v[6:7]
	v_mul_f64 v[20:21], v[24:25], v[4:5]
	global_store_dwordx4 v[14:15], v[0:3], off
	v_add_co_u32_e64 v14, s[0:1], s4, v14
	v_mul_f64 v[0:1], v[12:13], s[2:3]
	v_mul_f64 v[2:3], v[16:17], s[2:3]
	v_addc_co_u32_e64 v15, s[0:1], v15, v26, s[0:1]
	v_fma_f64 v[4:5], v[22:23], v[4:5], v[18:19]
	v_fma_f64 v[12:13], v[22:23], v[6:7], -v[20:21]
	buffer_load_dword v20, off, s[52:55], 0 offset:188 ; 4-byte Folded Reload
	buffer_load_dword v21, off, s[52:55], 0 offset:192 ; 4-byte Folded Reload
	;; [unrolled: 1-line block ×4, first 2 shown]
	s_waitcnt vmcnt(0) lgkmcnt(0)
	v_mul_f64 v[16:17], v[22:23], v[10:11]
	v_mul_f64 v[18:19], v[22:23], v[8:9]
	global_store_dwordx4 v[14:15], v[0:3], off
	v_add_co_u32_e64 v14, s[0:1], s4, v14
	v_mul_f64 v[0:1], v[4:5], s[2:3]
	ds_read_b128 v[4:7], v178 offset:10080
	v_mul_f64 v[2:3], v[12:13], s[2:3]
	v_fma_f64 v[12:13], v[20:21], v[8:9], v[16:17]
	v_fma_f64 v[16:17], v[20:21], v[10:11], -v[18:19]
	ds_read_b128 v[8:11], v178 offset:11760
	buffer_load_dword v22, off, s[52:55], 0 offset:92 ; 4-byte Folded Reload
	buffer_load_dword v23, off, s[52:55], 0 offset:96 ; 4-byte Folded Reload
	;; [unrolled: 1-line block ×4, first 2 shown]
	v_addc_co_u32_e64 v15, s[0:1], v15, v26, s[0:1]
	global_store_dwordx4 v[14:15], v[0:3], off
	s_nop 0
	v_mul_f64 v[0:1], v[12:13], s[2:3]
	v_mul_f64 v[2:3], v[16:17], s[2:3]
	v_add_co_u32_e64 v14, s[0:1], s4, v14
	v_addc_co_u32_e64 v15, s[0:1], v15, v26, s[0:1]
	s_waitcnt vmcnt(1) lgkmcnt(1)
	v_mul_f64 v[18:19], v[24:25], v[6:7]
	v_mul_f64 v[20:21], v[24:25], v[4:5]
	v_fma_f64 v[4:5], v[22:23], v[4:5], v[18:19]
	v_fma_f64 v[12:13], v[22:23], v[6:7], -v[20:21]
	buffer_load_dword v20, off, s[52:55], 0 offset:44 ; 4-byte Folded Reload
	buffer_load_dword v21, off, s[52:55], 0 offset:48 ; 4-byte Folded Reload
	;; [unrolled: 1-line block ×4, first 2 shown]
	s_waitcnt vmcnt(0) lgkmcnt(0)
	v_mul_f64 v[16:17], v[22:23], v[10:11]
	v_mul_f64 v[18:19], v[22:23], v[8:9]
	global_store_dwordx4 v[14:15], v[0:3], off
	v_add_co_u32_e64 v14, s[0:1], s4, v14
	v_mul_f64 v[0:1], v[4:5], s[2:3]
	ds_read_b128 v[4:7], v178 offset:13440
	v_mul_f64 v[2:3], v[12:13], s[2:3]
	v_fma_f64 v[12:13], v[20:21], v[8:9], v[16:17]
	v_fma_f64 v[16:17], v[20:21], v[10:11], -v[18:19]
	ds_read_b128 v[8:11], v178 offset:15120
	buffer_load_dword v22, off, s[52:55], 0 offset:156 ; 4-byte Folded Reload
	buffer_load_dword v23, off, s[52:55], 0 offset:160 ; 4-byte Folded Reload
	;; [unrolled: 1-line block ×4, first 2 shown]
	v_addc_co_u32_e64 v15, s[0:1], v15, v26, s[0:1]
	global_store_dwordx4 v[14:15], v[0:3], off
	s_nop 0
	v_mul_f64 v[0:1], v[12:13], s[2:3]
	v_mul_f64 v[2:3], v[16:17], s[2:3]
	v_add_co_u32_e64 v14, s[0:1], s4, v14
	v_addc_co_u32_e64 v15, s[0:1], v15, v26, s[0:1]
	s_waitcnt vmcnt(1) lgkmcnt(1)
	v_mul_f64 v[18:19], v[24:25], v[6:7]
	v_mul_f64 v[20:21], v[24:25], v[4:5]
	v_fma_f64 v[4:5], v[22:23], v[4:5], v[18:19]
	v_fma_f64 v[12:13], v[22:23], v[6:7], -v[20:21]
	buffer_load_dword v20, off, s[52:55], 0 offset:60 ; 4-byte Folded Reload
	buffer_load_dword v21, off, s[52:55], 0 offset:64 ; 4-byte Folded Reload
	;; [unrolled: 1-line block ×4, first 2 shown]
	s_waitcnt vmcnt(0) lgkmcnt(0)
	v_mul_f64 v[16:17], v[22:23], v[10:11]
	v_mul_f64 v[18:19], v[22:23], v[8:9]
	global_store_dwordx4 v[14:15], v[0:3], off
	v_add_co_u32_e64 v22, s[0:1], s4, v14
	v_mul_f64 v[0:1], v[4:5], s[2:3]
	ds_read_b128 v[4:7], v178 offset:16800
	v_mul_f64 v[2:3], v[12:13], s[2:3]
	v_fma_f64 v[12:13], v[20:21], v[8:9], v[16:17]
	v_fma_f64 v[16:17], v[20:21], v[10:11], -v[18:19]
	ds_read_b128 v[8:11], v178 offset:18480
	buffer_load_dword v27, off, s[52:55], 0 offset:108 ; 4-byte Folded Reload
	buffer_load_dword v28, off, s[52:55], 0 offset:112 ; 4-byte Folded Reload
	;; [unrolled: 1-line block ×4, first 2 shown]
	v_addc_co_u32_e64 v23, s[0:1], v15, v26, s[0:1]
	global_store_dwordx4 v[22:23], v[0:3], off
	s_nop 0
	v_mul_f64 v[0:1], v[12:13], s[2:3]
	ds_read_b128 v[12:15], v178 offset:20160
	v_mul_f64 v[2:3], v[16:17], s[2:3]
	v_add_co_u32_e64 v22, s[0:1], s4, v22
	v_addc_co_u32_e64 v23, s[0:1], v23, v26, s[0:1]
	s_waitcnt vmcnt(1) lgkmcnt(2)
	v_mul_f64 v[18:19], v[29:30], v[6:7]
	v_mul_f64 v[20:21], v[29:30], v[4:5]
	v_fma_f64 v[4:5], v[27:28], v[4:5], v[18:19]
	v_fma_f64 v[6:7], v[27:28], v[6:7], -v[20:21]
	buffer_load_dword v27, off, s[52:55], 0 offset:12 ; 4-byte Folded Reload
	buffer_load_dword v28, off, s[52:55], 0 offset:16 ; 4-byte Folded Reload
	;; [unrolled: 1-line block ×4, first 2 shown]
	s_waitcnt vmcnt(0) lgkmcnt(1)
	v_mul_f64 v[16:17], v[29:30], v[10:11]
	v_mul_f64 v[18:19], v[29:30], v[8:9]
	buffer_load_dword v29, off, s[52:55], 0 offset:124 ; 4-byte Folded Reload
	buffer_load_dword v30, off, s[52:55], 0 offset:128 ; 4-byte Folded Reload
	;; [unrolled: 1-line block ×4, first 2 shown]
	s_waitcnt vmcnt(0) lgkmcnt(0)
	v_mul_f64 v[20:21], v[31:32], v[14:15]
	v_mul_f64 v[24:25], v[31:32], v[12:13]
	global_store_dwordx4 v[22:23], v[0:3], off
	s_nop 0
	v_mul_f64 v[0:1], v[4:5], s[2:3]
	v_mul_f64 v[2:3], v[6:7], s[2:3]
	v_fma_f64 v[4:5], v[27:28], v[8:9], v[16:17]
	v_fma_f64 v[6:7], v[27:28], v[10:11], -v[18:19]
	v_fma_f64 v[8:9], v[29:30], v[12:13], v[20:21]
	v_fma_f64 v[10:11], v[29:30], v[14:15], -v[24:25]
	v_add_co_u32_e64 v12, s[0:1], s4, v22
	v_addc_co_u32_e64 v13, s[0:1], v23, v26, s[0:1]
	v_mul_f64 v[4:5], v[4:5], s[2:3]
	v_mul_f64 v[6:7], v[6:7], s[2:3]
	;; [unrolled: 1-line block ×4, first 2 shown]
	global_store_dwordx4 v[12:13], v[0:3], off
	s_nop 0
	v_add_co_u32_e64 v0, s[0:1], s4, v12
	v_addc_co_u32_e64 v1, s[0:1], v13, v26, s[0:1]
	global_store_dwordx4 v[0:1], v[4:7], off
	v_add_co_u32_e64 v0, s[0:1], s4, v0
	v_addc_co_u32_e64 v1, s[0:1], v1, v26, s[0:1]
	global_store_dwordx4 v[0:1], v[8:11], off
	s_and_b64 exec, exec, vcc
	s_cbranch_execz .LBB0_23
; %bb.22:
	global_load_dwordx4 v[2:5], v[96:97], off offset:1456
	ds_read_b128 v[6:9], v180 offset:1456
	v_mov_b32_e32 v18, s5
	s_waitcnt vmcnt(0) lgkmcnt(0)
	v_mul_f64 v[10:11], v[8:9], v[4:5]
	v_mul_f64 v[4:5], v[6:7], v[4:5]
	v_fma_f64 v[6:7], v[6:7], v[2:3], v[10:11]
	v_fma_f64 v[4:5], v[2:3], v[8:9], -v[4:5]
	v_mul_f64 v[2:3], v[6:7], s[2:3]
	v_mul_f64 v[4:5], v[4:5], s[2:3]
	v_mov_b32_e32 v6, 0xffffb6f0
	v_mad_u64_u32 v[12:13], s[0:1], s8, v6, v[0:1]
	s_mul_i32 s0, s9, 0xffffb6f0
	s_sub_i32 s0, s0, s8
	v_add_u32_e32 v13, s0, v13
	s_movk_i32 s0, 0x1000
	global_store_dwordx4 v[12:13], v[2:5], off
	global_load_dwordx4 v[0:3], v[96:97], off offset:3136
	ds_read_b128 v[4:7], v178 offset:3136
	ds_read_b128 v[8:11], v178 offset:4816
	s_waitcnt vmcnt(0) lgkmcnt(1)
	v_mul_f64 v[14:15], v[6:7], v[2:3]
	v_mul_f64 v[2:3], v[4:5], v[2:3]
	v_fma_f64 v[4:5], v[4:5], v[0:1], v[14:15]
	v_fma_f64 v[2:3], v[0:1], v[6:7], -v[2:3]
	v_add_co_u32_e32 v14, vcc, s0, v96
	v_addc_co_u32_e32 v15, vcc, 0, v97, vcc
	s_movk_i32 s0, 0x2000
	v_mul_f64 v[0:1], v[4:5], s[2:3]
	v_mul_f64 v[2:3], v[2:3], s[2:3]
	v_add_co_u32_e32 v4, vcc, s4, v12
	v_addc_co_u32_e32 v5, vcc, v13, v18, vcc
	v_add_co_u32_e32 v12, vcc, s4, v4
	v_addc_co_u32_e32 v13, vcc, v5, v18, vcc
	global_store_dwordx4 v[4:5], v[0:3], off
	global_load_dwordx4 v[0:3], v[14:15], off offset:720
	s_waitcnt vmcnt(0) lgkmcnt(0)
	v_mul_f64 v[6:7], v[10:11], v[2:3]
	v_mul_f64 v[2:3], v[8:9], v[2:3]
	v_fma_f64 v[6:7], v[8:9], v[0:1], v[6:7]
	v_fma_f64 v[2:3], v[0:1], v[10:11], -v[2:3]
	v_mul_f64 v[0:1], v[6:7], s[2:3]
	v_mul_f64 v[2:3], v[2:3], s[2:3]
	global_store_dwordx4 v[12:13], v[0:3], off
	global_load_dwordx4 v[0:3], v[14:15], off offset:2400
	ds_read_b128 v[4:7], v178 offset:6496
	ds_read_b128 v[8:11], v178 offset:8176
	s_waitcnt vmcnt(0) lgkmcnt(1)
	v_mul_f64 v[16:17], v[6:7], v[2:3]
	v_mul_f64 v[2:3], v[4:5], v[2:3]
	v_fma_f64 v[4:5], v[4:5], v[0:1], v[16:17]
	v_fma_f64 v[2:3], v[0:1], v[6:7], -v[2:3]
	v_mul_f64 v[0:1], v[4:5], s[2:3]
	v_mul_f64 v[2:3], v[2:3], s[2:3]
	v_add_co_u32_e32 v4, vcc, s4, v12
	v_addc_co_u32_e32 v5, vcc, v13, v18, vcc
	v_add_co_u32_e32 v12, vcc, s0, v96
	v_addc_co_u32_e32 v13, vcc, 0, v97, vcc
	global_store_dwordx4 v[4:5], v[0:3], off
	global_load_dwordx4 v[0:3], v[14:15], off offset:4080
	v_add_co_u32_e32 v14, vcc, s4, v4
	v_addc_co_u32_e32 v15, vcc, v5, v18, vcc
	s_movk_i32 s0, 0x3000
	s_waitcnt vmcnt(0) lgkmcnt(0)
	v_mul_f64 v[6:7], v[10:11], v[2:3]
	v_mul_f64 v[2:3], v[8:9], v[2:3]
	v_fma_f64 v[6:7], v[8:9], v[0:1], v[6:7]
	v_fma_f64 v[2:3], v[0:1], v[10:11], -v[2:3]
	v_mul_f64 v[0:1], v[6:7], s[2:3]
	v_mul_f64 v[2:3], v[2:3], s[2:3]
	global_store_dwordx4 v[14:15], v[0:3], off
	global_load_dwordx4 v[0:3], v[12:13], off offset:1664
	ds_read_b128 v[4:7], v178 offset:9856
	ds_read_b128 v[8:11], v178 offset:11536
	s_waitcnt vmcnt(0) lgkmcnt(1)
	v_mul_f64 v[16:17], v[6:7], v[2:3]
	v_mul_f64 v[2:3], v[4:5], v[2:3]
	v_fma_f64 v[4:5], v[4:5], v[0:1], v[16:17]
	v_fma_f64 v[2:3], v[0:1], v[6:7], -v[2:3]
	v_mul_f64 v[0:1], v[4:5], s[2:3]
	v_mul_f64 v[2:3], v[2:3], s[2:3]
	v_add_co_u32_e32 v4, vcc, s4, v14
	v_addc_co_u32_e32 v5, vcc, v15, v18, vcc
	global_store_dwordx4 v[4:5], v[0:3], off
	global_load_dwordx4 v[0:3], v[12:13], off offset:3344
	v_add_co_u32_e32 v12, vcc, s0, v96
	v_addc_co_u32_e32 v13, vcc, 0, v97, vcc
	v_add_co_u32_e32 v14, vcc, s4, v4
	v_addc_co_u32_e32 v15, vcc, v5, v18, vcc
	s_movk_i32 s0, 0x4000
	s_waitcnt vmcnt(0) lgkmcnt(0)
	v_mul_f64 v[6:7], v[10:11], v[2:3]
	v_mul_f64 v[2:3], v[8:9], v[2:3]
	v_fma_f64 v[6:7], v[8:9], v[0:1], v[6:7]
	v_fma_f64 v[2:3], v[0:1], v[10:11], -v[2:3]
	v_mul_f64 v[0:1], v[6:7], s[2:3]
	v_mul_f64 v[2:3], v[2:3], s[2:3]
	global_store_dwordx4 v[14:15], v[0:3], off
	global_load_dwordx4 v[0:3], v[12:13], off offset:928
	ds_read_b128 v[4:7], v178 offset:13216
	ds_read_b128 v[8:11], v178 offset:14896
	s_waitcnt vmcnt(0) lgkmcnt(1)
	v_mul_f64 v[16:17], v[6:7], v[2:3]
	v_mul_f64 v[2:3], v[4:5], v[2:3]
	v_fma_f64 v[4:5], v[4:5], v[0:1], v[16:17]
	v_fma_f64 v[2:3], v[0:1], v[6:7], -v[2:3]
	v_mul_f64 v[0:1], v[4:5], s[2:3]
	v_mul_f64 v[2:3], v[2:3], s[2:3]
	v_add_co_u32_e32 v4, vcc, s4, v14
	v_addc_co_u32_e32 v5, vcc, v15, v18, vcc
	global_store_dwordx4 v[4:5], v[0:3], off
	global_load_dwordx4 v[0:3], v[12:13], off offset:2608
	v_add_co_u32_e32 v12, vcc, s0, v96
	v_addc_co_u32_e32 v13, vcc, 0, v97, vcc
	v_add_co_u32_e32 v14, vcc, s4, v4
	v_addc_co_u32_e32 v15, vcc, v5, v18, vcc
	s_movk_i32 s0, 0x5000
	s_waitcnt vmcnt(0) lgkmcnt(0)
	v_mul_f64 v[6:7], v[10:11], v[2:3]
	v_mul_f64 v[2:3], v[8:9], v[2:3]
	v_fma_f64 v[6:7], v[8:9], v[0:1], v[6:7]
	v_fma_f64 v[2:3], v[0:1], v[10:11], -v[2:3]
	v_mul_f64 v[0:1], v[6:7], s[2:3]
	v_mul_f64 v[2:3], v[2:3], s[2:3]
	global_store_dwordx4 v[14:15], v[0:3], off
	global_load_dwordx4 v[0:3], v[12:13], off offset:192
	ds_read_b128 v[4:7], v178 offset:16576
	ds_read_b128 v[8:11], v178 offset:18256
	s_waitcnt vmcnt(0) lgkmcnt(1)
	v_mul_f64 v[16:17], v[6:7], v[2:3]
	v_mul_f64 v[2:3], v[4:5], v[2:3]
	v_fma_f64 v[4:5], v[4:5], v[0:1], v[16:17]
	v_fma_f64 v[2:3], v[0:1], v[6:7], -v[2:3]
	v_mul_f64 v[0:1], v[4:5], s[2:3]
	v_mul_f64 v[2:3], v[2:3], s[2:3]
	v_add_co_u32_e32 v4, vcc, s4, v14
	v_addc_co_u32_e32 v5, vcc, v15, v18, vcc
	v_add_co_u32_e32 v14, vcc, s4, v4
	v_addc_co_u32_e32 v15, vcc, v5, v18, vcc
	global_store_dwordx4 v[4:5], v[0:3], off
	global_load_dwordx4 v[0:3], v[12:13], off offset:1872
	s_waitcnt vmcnt(0) lgkmcnt(0)
	v_mul_f64 v[6:7], v[10:11], v[2:3]
	v_mul_f64 v[2:3], v[8:9], v[2:3]
	v_fma_f64 v[6:7], v[8:9], v[0:1], v[6:7]
	v_fma_f64 v[2:3], v[0:1], v[10:11], -v[2:3]
	v_mul_f64 v[0:1], v[6:7], s[2:3]
	v_mul_f64 v[2:3], v[2:3], s[2:3]
	global_store_dwordx4 v[14:15], v[0:3], off
	global_load_dwordx4 v[0:3], v[12:13], off offset:3552
	ds_read_b128 v[4:7], v178 offset:19936
	ds_read_b128 v[8:11], v178 offset:21616
	s_waitcnt vmcnt(0) lgkmcnt(1)
	v_mul_f64 v[12:13], v[6:7], v[2:3]
	v_mul_f64 v[2:3], v[4:5], v[2:3]
	v_fma_f64 v[4:5], v[4:5], v[0:1], v[12:13]
	v_fma_f64 v[2:3], v[0:1], v[6:7], -v[2:3]
	v_mul_f64 v[0:1], v[4:5], s[2:3]
	v_mul_f64 v[2:3], v[2:3], s[2:3]
	v_add_co_u32_e32 v4, vcc, s0, v96
	v_addc_co_u32_e32 v5, vcc, 0, v97, vcc
	v_add_co_u32_e32 v6, vcc, s4, v14
	v_addc_co_u32_e32 v7, vcc, v15, v18, vcc
	global_store_dwordx4 v[6:7], v[0:3], off
	global_load_dwordx4 v[0:3], v[4:5], off offset:1136
	s_waitcnt vmcnt(0) lgkmcnt(0)
	v_mul_f64 v[4:5], v[10:11], v[2:3]
	v_mul_f64 v[2:3], v[8:9], v[2:3]
	v_fma_f64 v[4:5], v[8:9], v[0:1], v[4:5]
	v_fma_f64 v[2:3], v[0:1], v[10:11], -v[2:3]
	v_mul_f64 v[0:1], v[4:5], s[2:3]
	v_mul_f64 v[2:3], v[2:3], s[2:3]
	v_add_co_u32_e32 v4, vcc, s4, v6
	v_addc_co_u32_e32 v5, vcc, v7, v18, vcc
	global_store_dwordx4 v[4:5], v[0:3], off
.LBB0_23:
	s_endpgm
	.section	.rodata,"a",@progbits
	.p2align	6, 0x0
	.amdhsa_kernel bluestein_single_back_len1365_dim1_dp_op_CI_CI
		.amdhsa_group_segment_fixed_size 43680
		.amdhsa_private_segment_fixed_size 972
		.amdhsa_kernarg_size 104
		.amdhsa_user_sgpr_count 6
		.amdhsa_user_sgpr_private_segment_buffer 1
		.amdhsa_user_sgpr_dispatch_ptr 0
		.amdhsa_user_sgpr_queue_ptr 0
		.amdhsa_user_sgpr_kernarg_segment_ptr 1
		.amdhsa_user_sgpr_dispatch_id 0
		.amdhsa_user_sgpr_flat_scratch_init 0
		.amdhsa_user_sgpr_private_segment_size 0
		.amdhsa_uses_dynamic_stack 0
		.amdhsa_system_sgpr_private_segment_wavefront_offset 1
		.amdhsa_system_sgpr_workgroup_id_x 1
		.amdhsa_system_sgpr_workgroup_id_y 0
		.amdhsa_system_sgpr_workgroup_id_z 0
		.amdhsa_system_sgpr_workgroup_info 0
		.amdhsa_system_vgpr_workitem_id 0
		.amdhsa_next_free_vgpr 256
		.amdhsa_next_free_sgpr 56
		.amdhsa_reserve_vcc 1
		.amdhsa_reserve_flat_scratch 0
		.amdhsa_float_round_mode_32 0
		.amdhsa_float_round_mode_16_64 0
		.amdhsa_float_denorm_mode_32 3
		.amdhsa_float_denorm_mode_16_64 3
		.amdhsa_dx10_clamp 1
		.amdhsa_ieee_mode 1
		.amdhsa_fp16_overflow 0
		.amdhsa_exception_fp_ieee_invalid_op 0
		.amdhsa_exception_fp_denorm_src 0
		.amdhsa_exception_fp_ieee_div_zero 0
		.amdhsa_exception_fp_ieee_overflow 0
		.amdhsa_exception_fp_ieee_underflow 0
		.amdhsa_exception_fp_ieee_inexact 0
		.amdhsa_exception_int_div_zero 0
	.end_amdhsa_kernel
	.text
.Lfunc_end0:
	.size	bluestein_single_back_len1365_dim1_dp_op_CI_CI, .Lfunc_end0-bluestein_single_back_len1365_dim1_dp_op_CI_CI
                                        ; -- End function
	.section	.AMDGPU.csdata,"",@progbits
; Kernel info:
; codeLenInByte = 39596
; NumSgprs: 60
; NumVgprs: 256
; ScratchSize: 972
; MemoryBound: 0
; FloatMode: 240
; IeeeMode: 1
; LDSByteSize: 43680 bytes/workgroup (compile time only)
; SGPRBlocks: 7
; VGPRBlocks: 63
; NumSGPRsForWavesPerEU: 60
; NumVGPRsForWavesPerEU: 256
; Occupancy: 1
; WaveLimiterHint : 1
; COMPUTE_PGM_RSRC2:SCRATCH_EN: 1
; COMPUTE_PGM_RSRC2:USER_SGPR: 6
; COMPUTE_PGM_RSRC2:TRAP_HANDLER: 0
; COMPUTE_PGM_RSRC2:TGID_X_EN: 1
; COMPUTE_PGM_RSRC2:TGID_Y_EN: 0
; COMPUTE_PGM_RSRC2:TGID_Z_EN: 0
; COMPUTE_PGM_RSRC2:TIDIG_COMP_CNT: 0
	.type	__hip_cuid_875bc27d2c9ec455,@object ; @__hip_cuid_875bc27d2c9ec455
	.section	.bss,"aw",@nobits
	.globl	__hip_cuid_875bc27d2c9ec455
__hip_cuid_875bc27d2c9ec455:
	.byte	0                               ; 0x0
	.size	__hip_cuid_875bc27d2c9ec455, 1

	.ident	"AMD clang version 19.0.0git (https://github.com/RadeonOpenCompute/llvm-project roc-6.4.0 25133 c7fe45cf4b819c5991fe208aaa96edf142730f1d)"
	.section	".note.GNU-stack","",@progbits
	.addrsig
	.addrsig_sym __hip_cuid_875bc27d2c9ec455
	.amdgpu_metadata
---
amdhsa.kernels:
  - .args:
      - .actual_access:  read_only
        .address_space:  global
        .offset:         0
        .size:           8
        .value_kind:     global_buffer
      - .actual_access:  read_only
        .address_space:  global
        .offset:         8
        .size:           8
        .value_kind:     global_buffer
      - .actual_access:  read_only
        .address_space:  global
        .offset:         16
        .size:           8
        .value_kind:     global_buffer
      - .actual_access:  read_only
        .address_space:  global
        .offset:         24
        .size:           8
        .value_kind:     global_buffer
      - .actual_access:  read_only
        .address_space:  global
        .offset:         32
        .size:           8
        .value_kind:     global_buffer
      - .offset:         40
        .size:           8
        .value_kind:     by_value
      - .address_space:  global
        .offset:         48
        .size:           8
        .value_kind:     global_buffer
      - .address_space:  global
        .offset:         56
        .size:           8
        .value_kind:     global_buffer
      - .address_space:  global
        .offset:         64
        .size:           8
        .value_kind:     global_buffer
      - .address_space:  global
        .offset:         72
        .size:           8
        .value_kind:     global_buffer
      - .offset:         80
        .size:           4
        .value_kind:     by_value
      - .address_space:  global
        .offset:         88
        .size:           8
        .value_kind:     global_buffer
      - .address_space:  global
        .offset:         96
        .size:           8
        .value_kind:     global_buffer
    .group_segment_fixed_size: 43680
    .kernarg_segment_align: 8
    .kernarg_segment_size: 104
    .language:       OpenCL C
    .language_version:
      - 2
      - 0
    .max_flat_workgroup_size: 182
    .name:           bluestein_single_back_len1365_dim1_dp_op_CI_CI
    .private_segment_fixed_size: 972
    .sgpr_count:     60
    .sgpr_spill_count: 0
    .symbol:         bluestein_single_back_len1365_dim1_dp_op_CI_CI.kd
    .uniform_work_group_size: 1
    .uses_dynamic_stack: false
    .vgpr_count:     256
    .vgpr_spill_count: 242
    .wavefront_size: 64
amdhsa.target:   amdgcn-amd-amdhsa--gfx906
amdhsa.version:
  - 1
  - 2
...

	.end_amdgpu_metadata
